;; amdgpu-corpus repo=zjin-lcf/HeCBench kind=compiled arch=gfx1250 opt=O3
	.amdgcn_target "amdgcn-amd-amdhsa--gfx1250"
	.amdhsa_code_object_version 6
	.section	.text._Z24reshape_and_cache_kernelIfhL18Fp8KVCacheDataType1EEvPKT_S3_PT0_S5_PKliiiiiiff,"axG",@progbits,_Z24reshape_and_cache_kernelIfhL18Fp8KVCacheDataType1EEvPKT_S3_PT0_S5_PKliiiiiiff,comdat
	.protected	_Z24reshape_and_cache_kernelIfhL18Fp8KVCacheDataType1EEvPKT_S3_PT0_S5_PKliiiiiiff ; -- Begin function _Z24reshape_and_cache_kernelIfhL18Fp8KVCacheDataType1EEvPKT_S3_PT0_S5_PKliiiiiiff
	.globl	_Z24reshape_and_cache_kernelIfhL18Fp8KVCacheDataType1EEvPKT_S3_PT0_S5_PKliiiiiiff
	.p2align	8
	.type	_Z24reshape_and_cache_kernelIfhL18Fp8KVCacheDataType1EEvPKT_S3_PT0_S5_PKliiiiiiff,@function
_Z24reshape_and_cache_kernelIfhL18Fp8KVCacheDataType1EEvPKT_S3_PT0_S5_PKliiiiiiff: ; @_Z24reshape_and_cache_kernelIfhL18Fp8KVCacheDataType1EEvPKT_S3_PT0_S5_PKliiiiiiff
; %bb.0:
	s_load_b64 s[2:3], s[0:1], 0x20
	s_bfe_u32 s4, ttmp6, 0x4000c
	s_and_b32 s5, ttmp6, 15
	s_add_co_i32 s4, s4, 1
	s_getreg_b32 s6, hwreg(HW_REG_IB_STS2, 6, 4)
	s_mul_i32 s4, ttmp9, s4
	s_mov_b32 s27, 0
	s_add_co_i32 s5, s5, s4
	s_cmp_eq_u32 s6, 0
	s_cselect_b32 s26, ttmp9, s5
	s_wait_kmcnt 0x0
	s_load_b64 s[22:23], s[2:3], s26 offset:0x0 scale_offset
	s_wait_kmcnt 0x0
	v_cmp_lt_i64_e64 s2, s[22:23], 0
	s_and_b32 vcc_lo, exec_lo, s2
	s_cbranch_vccnz .LBB0_179
; %bb.1:
	s_load_b256 s[4:11], s[0:1], 0x28
	s_wait_kmcnt 0x0
	s_ashr_i32 s25, s8, 31
	s_mov_b32 s24, s8
	s_delay_alu instid0(SALU_CYCLE_1) | instskip(NEXT) | instid1(SALU_CYCLE_1)
	s_or_b64 s[2:3], s[22:23], s[24:25]
	s_and_b64 s[2:3], s[2:3], 0xffffffff00000000
	s_delay_alu instid0(SALU_CYCLE_1)
	s_cmp_lg_u64 s[2:3], 0
	s_cbranch_scc0 .LBB0_180
; %bb.2:
	s_ashr_i32 s2, s25, 31
	s_delay_alu instid0(SALU_CYCLE_1) | instskip(NEXT) | instid1(SALU_CYCLE_1)
	s_mov_b32 s3, s2
	s_add_nc_u64 s[12:13], s[24:25], s[2:3]
	s_delay_alu instid0(SALU_CYCLE_1) | instskip(NEXT) | instid1(SALU_CYCLE_1)
	s_xor_b64 s[12:13], s[12:13], s[2:3]
	s_cvt_f32_u32 s14, s12
	s_cvt_f32_u32 s15, s13
	s_sub_nc_u64 s[18:19], 0, s[12:13]
	s_delay_alu instid0(SALU_CYCLE_2) | instskip(NEXT) | instid1(SALU_CYCLE_3)
	s_fmamk_f32 s14, s15, 0x4f800000, s14
	v_s_rcp_f32 s14, s14
	s_delay_alu instid0(TRANS32_DEP_1) | instskip(NEXT) | instid1(SALU_CYCLE_3)
	s_mul_f32 s14, s14, 0x5f7ffffc
	s_mul_f32 s15, s14, 0x2f800000
	s_delay_alu instid0(SALU_CYCLE_3) | instskip(NEXT) | instid1(SALU_CYCLE_3)
	s_trunc_f32 s15, s15
	s_fmamk_f32 s14, s15, 0xcf800000, s14
	s_cvt_u32_f32 s17, s15
	s_mov_b32 s15, 0
	s_delay_alu instid0(SALU_CYCLE_1) | instskip(NEXT) | instid1(SALU_CYCLE_3)
	s_cvt_u32_f32 s16, s14
	s_mul_u64 s[20:21], s[18:19], s[16:17]
	s_delay_alu instid0(SALU_CYCLE_1)
	s_mul_hi_u32 s29, s16, s21
	s_mul_i32 s28, s16, s21
	s_mul_hi_u32 s14, s16, s20
	s_mul_i32 s31, s17, s20
	s_add_nc_u64 s[28:29], s[14:15], s[28:29]
	s_mul_hi_u32 s30, s17, s20
	s_mul_hi_u32 s33, s17, s21
	s_add_co_u32 s14, s28, s31
	s_add_co_ci_u32 s14, s29, s30
	s_mul_i32 s20, s17, s21
	s_add_co_ci_u32 s21, s33, 0
	s_delay_alu instid0(SALU_CYCLE_1) | instskip(NEXT) | instid1(SALU_CYCLE_1)
	s_add_nc_u64 s[20:21], s[14:15], s[20:21]
	s_add_co_u32 s16, s16, s20
	s_cselect_b32 s14, -1, 0
	s_delay_alu instid0(SALU_CYCLE_1) | instskip(SKIP_1) | instid1(SALU_CYCLE_1)
	s_cmp_lg_u32 s14, 0
	s_add_co_ci_u32 s17, s17, s21
	s_mul_u64 s[18:19], s[18:19], s[16:17]
	s_delay_alu instid0(SALU_CYCLE_1)
	s_mul_hi_u32 s21, s16, s19
	s_mul_i32 s20, s16, s19
	s_mul_hi_u32 s14, s16, s18
	s_mul_i32 s29, s17, s18
	s_add_nc_u64 s[20:21], s[14:15], s[20:21]
	s_mul_hi_u32 s28, s17, s18
	s_mul_hi_u32 s30, s17, s19
	s_add_co_u32 s14, s20, s29
	s_add_co_ci_u32 s14, s21, s28
	s_mul_i32 s18, s17, s19
	s_add_co_ci_u32 s19, s30, 0
	s_delay_alu instid0(SALU_CYCLE_1) | instskip(NEXT) | instid1(SALU_CYCLE_1)
	s_add_nc_u64 s[18:19], s[14:15], s[18:19]
	s_add_co_u32 s28, s16, s18
	s_cselect_b32 s14, -1, 0
	s_delay_alu instid0(SALU_CYCLE_1) | instskip(SKIP_2) | instid1(SALU_CYCLE_1)
	s_cmp_lg_u32 s14, 0
	s_add_co_ci_u32 s29, s17, s19
	s_ashr_i32 s16, s23, 31
	s_mov_b32 s17, s16
	s_delay_alu instid0(SALU_CYCLE_1) | instskip(NEXT) | instid1(SALU_CYCLE_1)
	s_add_nc_u64 s[18:19], s[22:23], s[16:17]
	s_xor_b64 s[18:19], s[18:19], s[16:17]
	s_delay_alu instid0(SALU_CYCLE_1)
	s_mul_hi_u32 s21, s18, s29
	s_mul_i32 s20, s18, s29
	s_mul_hi_u32 s14, s18, s28
	s_mul_i32 s33, s19, s28
	s_add_nc_u64 s[20:21], s[14:15], s[20:21]
	s_mul_hi_u32 s31, s19, s28
	s_mul_hi_u32 s30, s19, s29
	s_add_co_u32 s14, s20, s33
	s_add_co_ci_u32 s14, s21, s31
	s_mul_i32 s28, s19, s29
	s_add_co_ci_u32 s29, s30, 0
	s_delay_alu instid0(SALU_CYCLE_1) | instskip(NEXT) | instid1(SALU_CYCLE_1)
	s_add_nc_u64 s[20:21], s[14:15], s[28:29]
	s_and_b64 s[28:29], s[20:21], 0xffffffff00000000
	s_delay_alu instid0(SALU_CYCLE_1) | instskip(NEXT) | instid1(SALU_CYCLE_1)
	s_or_b32 s28, s28, s20
	s_mul_u64 s[20:21], s[12:13], s[28:29]
	s_delay_alu instid0(SALU_CYCLE_1)
	s_sub_co_u32 s14, s18, s20
	s_cselect_b32 s18, -1, 0
	s_sub_co_i32 s20, s19, s21
	s_cmp_lg_u32 s18, 0
	s_sub_co_ci_u32 s20, s20, s13
	s_sub_co_u32 s30, s14, s12
	s_cselect_b32 s31, -1, 0
	s_delay_alu instid0(SALU_CYCLE_1) | instskip(SKIP_1) | instid1(SALU_CYCLE_1)
	s_cmp_lg_u32 s31, 0
	s_sub_co_ci_u32 s20, s20, 0
	s_cmp_ge_u32 s20, s13
	s_cselect_b32 s33, -1, 0
	s_cmp_ge_u32 s30, s12
	s_add_nc_u64 s[30:31], s[28:29], 1
	s_cselect_b32 s34, -1, 0
	s_cmp_eq_u32 s20, s13
	s_cselect_b32 s20, s34, s33
	s_add_nc_u64 s[34:35], s[28:29], 2
	s_cmp_lg_u32 s20, 0
	s_cselect_b32 s20, s34, s30
	s_cselect_b32 s30, s35, s31
	s_cmp_lg_u32 s18, 0
	s_sub_co_ci_u32 s18, s19, s21
	s_delay_alu instid0(SALU_CYCLE_1)
	s_cmp_ge_u32 s18, s13
	s_cselect_b32 s19, -1, 0
	s_cmp_ge_u32 s14, s12
	s_cselect_b32 s12, -1, 0
	s_cmp_eq_u32 s18, s13
	s_cselect_b32 s12, s12, s19
	s_delay_alu instid0(SALU_CYCLE_1) | instskip(SKIP_3) | instid1(SALU_CYCLE_1)
	s_cmp_lg_u32 s12, 0
	s_cselect_b32 s13, s30, s29
	s_cselect_b32 s12, s20, s28
	s_xor_b64 s[2:3], s[16:17], s[2:3]
	s_xor_b64 s[12:13], s[12:13], s[2:3]
	s_delay_alu instid0(SALU_CYCLE_1)
	s_sub_nc_u64 s[28:29], s[12:13], s[2:3]
	s_cbranch_execnz .LBB0_4
.LBB0_3:
	v_cvt_f32_u32_e32 v1, s24
	s_sub_co_i32 s3, 0, s24
	s_mov_b32 s29, 0
	s_delay_alu instid0(VALU_DEP_1) | instskip(SKIP_1) | instid1(TRANS32_DEP_1)
	v_rcp_iflag_f32_e32 v1, v1
	v_nop
	v_mul_f32_e32 v1, 0x4f7ffffe, v1
	s_delay_alu instid0(VALU_DEP_1) | instskip(NEXT) | instid1(VALU_DEP_1)
	v_cvt_u32_f32_e32 v1, v1
	v_readfirstlane_b32 s2, v1
	s_mul_i32 s3, s3, s2
	s_delay_alu instid0(SALU_CYCLE_1) | instskip(NEXT) | instid1(SALU_CYCLE_1)
	s_mul_hi_u32 s3, s2, s3
	s_add_co_i32 s2, s2, s3
	s_delay_alu instid0(SALU_CYCLE_1) | instskip(NEXT) | instid1(SALU_CYCLE_1)
	s_mul_hi_u32 s2, s22, s2
	s_mul_i32 s3, s2, s24
	s_add_co_i32 s12, s2, 1
	s_sub_co_i32 s3, s22, s3
	s_delay_alu instid0(SALU_CYCLE_1)
	s_sub_co_i32 s13, s3, s24
	s_cmp_ge_u32 s3, s24
	s_cselect_b32 s2, s12, s2
	s_cselect_b32 s3, s13, s3
	s_add_co_i32 s12, s2, 1
	s_cmp_ge_u32 s3, s24
	s_cselect_b32 s28, s12, s2
.LBB0_4:
	s_abs_i32 s2, s9
	s_abs_i32 s13, s7
	s_cvt_f32_u32 s3, s2
	s_sub_co_i32 s12, 0, s2
	s_mov_b32 s21, 0
	s_delay_alu instid0(SALU_CYCLE_1) | instskip(SKIP_1) | instid1(TRANS32_DEP_1)
	v_rcp_iflag_f32_e32 v1, s3
	v_nop
	v_readfirstlane_b32 s3, v1
	s_mul_f32 s3, s3, 0x4f7ffffe
	s_delay_alu instid0(SALU_CYCLE_3) | instskip(NEXT) | instid1(SALU_CYCLE_3)
	s_cvt_u32_f32 s3, s3
	s_mul_i32 s12, s12, s3
	s_delay_alu instid0(SALU_CYCLE_1) | instskip(NEXT) | instid1(SALU_CYCLE_1)
	s_mul_hi_u32 s12, s3, s12
	s_add_co_i32 s3, s3, s12
	s_xor_b32 s12, s7, s9
	s_mul_hi_u32 s3, s13, s3
	s_ashr_i32 s12, s12, 31
	s_mul_i32 s14, s3, s2
	s_delay_alu instid0(SALU_CYCLE_1)
	s_sub_co_i32 s13, s13, s14
	s_add_co_i32 s14, s3, 1
	s_sub_co_i32 s15, s13, s2
	s_cmp_ge_u32 s13, s2
	s_cselect_b32 s3, s14, s3
	s_cselect_b32 s13, s15, s13
	s_add_co_i32 s14, s3, 1
	s_cmp_ge_u32 s13, s2
	s_cselect_b32 s2, s14, s3
	s_mov_b32 s3, exec_lo
	s_xor_b32 s2, s2, s12
	s_delay_alu instid0(SALU_CYCLE_1) | instskip(NEXT) | instid1(SALU_CYCLE_1)
	s_sub_co_i32 s2, s2, s12
	s_mul_i32 s30, s2, s6
	s_delay_alu instid0(SALU_CYCLE_1)
	v_cmpx_gt_i32_e64 s30, v0
	s_cbranch_execz .LBB0_179
; %bb.5:
	s_ashr_i32 s13, s4, 31
	s_mov_b32 s12, s4
	s_and_b32 s4, s9, 3
	s_mul_u64 s[12:13], s[12:13], s[26:27]
	s_ashr_i32 s35, s5, 31
	s_lshl_b64 s[36:37], s[12:13], 2
	s_ashr_i32 s39, s6, 31
	s_ashr_i32 s3, s2, 31
	;; [unrolled: 1-line block ×3, first 2 shown]
	s_cmp_eq_u32 s4, 0
	s_mov_b32 s34, s5
	s_cselect_b32 s44, -1, 0
	s_ashr_i32 s31, s9, 2
	s_mul_u64 s[4:5], s[34:35], s[26:27]
	s_cmp_gt_i32 s31, 0
	s_load_b256 s[12:19], s[0:1], 0x0
	s_cselect_b32 s26, -1, 0
	s_lshl_b64 s[34:35], s[4:5], 2
	s_cmp_gt_i32 s9, 0
	s_load_b32 s20, s[0:1], 0x54
	s_cselect_b32 s27, -1, 0
	s_abs_i32 s33, s2
	s_mov_b32 s38, s6
	s_wait_xcnt 0x0
	s_cvt_f32_u32 s0, s33
	s_mul_u64 s[38:39], s[38:39], s[2:3]
	s_mov_b32 s40, s9
	s_mul_u64 s[42:43], s[28:29], s[24:25]
	v_rcp_iflag_f32_e32 v1, s0
	s_mul_u64 s[0:1], s[38:39], s[28:29]
	s_mul_u64 s[24:25], s[40:41], s[24:25]
	s_sub_nc_u64 s[4:5], s[22:23], s[42:43]
	s_mul_u64 s[24:25], s[24:25], s[0:1]
	v_mov_b32_e32 v7, 0
	s_mul_i32 s1, s9, s8
	v_readfirstlane_b32 s6, v1
	s_wait_kmcnt 0x0
	s_add_nc_u64 s[18:19], s[18:19], s[24:25]
	s_add_nc_u64 s[24:25], s[38:39], -1
	s_add_nc_u64 s[12:13], s[12:13], s[36:37]
	s_mul_u64 s[24:25], s[42:43], s[24:25]
	s_mul_f32 s0, s6, 0x4f7ffffe
	s_and_b32 s6, s20, 0xffff
	s_sub_co_i32 s20, 0, s33
	s_add_nc_u64 s[22:23], s[22:23], s[24:25]
	s_cvt_u32_f32 s0, s0
	s_mul_u64 s[22:23], s[22:23], s[40:41]
	s_add_nc_u64 s[14:15], s[14:15], s[34:35]
	s_add_nc_u64 s[16:17], s[16:17], s[22:23]
	s_mul_i32 s20, s20, s0
	s_add_nc_u64 s[22:23], s[12:13], 8
	s_mul_hi_u32 s20, s0, s20
	s_xor_b32 s28, s44, -1
	s_add_co_i32 s20, s0, s20
	s_mov_b32 s29, s21
	s_branch .LBB0_7
.LBB0_6:                                ;   in Loop: Header=BB0_7 Depth=1
	v_add_nc_u32_e32 v0, s6, v0
	s_delay_alu instid0(VALU_DEP_1)
	v_cmp_le_i32_e32 vcc_lo, s30, v0
	s_or_b32 s29, vcc_lo, s29
	s_wait_xcnt 0x0
	s_and_not1_b32 exec_lo, exec_lo, s29
	s_cbranch_execz .LBB0_179
.LBB0_7:                                ; =>This Loop Header: Depth=1
                                        ;     Child Loop BB0_12 Depth 2
                                        ;     Child Loop BB0_29 Depth 2
	;; [unrolled: 1-line block ×5, first 2 shown]
	v_sub_nc_u32_e32 v1, 0, v0
	s_delay_alu instid0(VALU_DEP_1) | instskip(NEXT) | instid1(VALU_DEP_1)
	v_max_i32_e32 v6, v0, v1
	v_mul_u64_e32 v[2:3], s[20:21], v[6:7]
	s_delay_alu instid0(VALU_DEP_1) | instskip(NEXT) | instid1(VALU_DEP_1)
	v_mul_lo_u32 v1, v3, s33
	v_dual_add_nc_u32 v2, 1, v3 :: v_dual_sub_nc_u32 v1, v6, v1
	s_delay_alu instid0(VALU_DEP_1) | instskip(NEXT) | instid1(VALU_DEP_2)
	v_cmp_le_u32_e32 vcc_lo, s33, v1
	v_dual_cndmask_b32 v2, v3, v2 :: v_dual_ashrrev_i32 v3, 31, v0
	v_subrev_nc_u32_e32 v4, s33, v1
	s_delay_alu instid0(VALU_DEP_1) | instskip(NEXT) | instid1(VALU_DEP_1)
	v_dual_cndmask_b32 v1, v1, v4 :: v_dual_add_nc_u32 v4, 1, v2
	v_cmp_le_u32_e32 vcc_lo, s33, v1
	s_delay_alu instid0(VALU_DEP_2) | instskip(NEXT) | instid1(VALU_DEP_1)
	v_dual_cndmask_b32 v1, v2, v4, vcc_lo :: v_dual_bitop2_b32 v3, s3, v3 bitop3:0x14
	v_xor_b32_e32 v1, v1, v3
	s_delay_alu instid0(VALU_DEP_1) | instskip(NEXT) | instid1(VALU_DEP_1)
	v_sub_nc_u32_e32 v1, v1, v3
	v_mul_lo_u32 v4, v1, s2
	v_mul_lo_u32 v8, v1, s7
	s_delay_alu instid0(VALU_DEP_2) | instskip(NEXT) | instid1(VALU_DEP_2)
	v_sub_nc_u32_e32 v1, v0, v4
	v_ashrrev_i32_e32 v9, 31, v8
	v_mul_lo_u32 v12, v4, s1
	s_delay_alu instid0(VALU_DEP_3) | instskip(NEXT) | instid1(VALU_DEP_3)
	v_mul_lo_u32 v10, v1, s9
	v_lshl_add_u64 v[2:3], v[8:9], 2, s[12:13]
	s_delay_alu instid0(VALU_DEP_2) | instskip(NEXT) | instid1(VALU_DEP_1)
	v_ashrrev_i32_e32 v11, 31, v10
	v_lshl_add_u64 v[2:3], v[10:11], 2, v[2:3]
	s_delay_alu instid0(VALU_DEP_1) | instskip(SKIP_2) | instid1(VALU_DEP_3)
	v_and_b32_e32 v6, 15, v2
	v_mul_lo_u32 v14, s1, v1
	v_ashrrev_i32_e32 v13, 31, v12
	v_cmp_ne_u64_e32 vcc_lo, 0, v[6:7]
	s_delay_alu instid0(VALU_DEP_3) | instskip(SKIP_1) | instid1(SALU_CYCLE_1)
	v_ashrrev_i32_e32 v15, 31, v14
	s_or_b32 s0, s28, vcc_lo
	s_and_saveexec_b32 s24, s0
	s_delay_alu instid0(SALU_CYCLE_1)
	s_xor_b32 s24, exec_lo, s24
	s_cbranch_execz .LBB0_102
; %bb.8:                                ;   in Loop: Header=BB0_7 Depth=1
	v_sub_nc_u32_e32 v1, 0, v2
	s_mov_b32 s25, exec_lo
	s_delay_alu instid0(VALU_DEP_1) | instskip(NEXT) | instid1(VALU_DEP_1)
	v_bfe_u32 v1, v1, 2, 2
	v_min_i32_e32 v16, s9, v1
	s_delay_alu instid0(VALU_DEP_1)
	v_cmpx_lt_i32_e32 0, v16
	s_cbranch_execz .LBB0_25
; %bb.9:                                ;   in Loop: Header=BB0_7 Depth=1
	v_add_nc_u64_e32 v[4:5], v[12:13], v[14:15]
	v_mov_b64_e32 v[18:19], v[2:3]
	v_mov_b32_e32 v1, v16
	s_mov_b32 s34, 0
	s_delay_alu instid0(VALU_DEP_3)
	v_add_nc_u64_e32 v[4:5], s[16:17], v[4:5]
	s_branch .LBB0_12
.LBB0_10:                               ;   in Loop: Header=BB0_12 Depth=2
	s_or_b32 exec_lo, exec_lo, s0
.LBB0_11:                               ;   in Loop: Header=BB0_12 Depth=2
	s_delay_alu instid0(SALU_CYCLE_1)
	s_or_b32 exec_lo, exec_lo, s35
	v_add_nc_u32_e32 v1, -1, v1
	global_store_b8 v[4:5], v6, off
	v_add_nc_u64_e32 v[18:19], 4, v[18:19]
	s_wait_xcnt 0x0
	v_add_nc_u64_e32 v[4:5], 1, v[4:5]
	v_cmp_eq_u32_e32 vcc_lo, 0, v1
	s_or_b32 s34, vcc_lo, s34
	s_delay_alu instid0(SALU_CYCLE_1)
	s_and_not1_b32 exec_lo, exec_lo, s34
	s_cbranch_execz .LBB0_25
.LBB0_12:                               ;   Parent Loop BB0_7 Depth=1
                                        ; =>  This Inner Loop Header: Depth=2
	global_load_b32 v6, v[18:19], off
	s_wait_loadcnt 0x0
	v_div_scale_f32 v17, null, s10, s10, v6
	s_delay_alu instid0(VALU_DEP_1) | instskip(SKIP_1) | instid1(TRANS32_DEP_1)
	v_rcp_f32_e32 v20, v17
	v_nop
	v_fma_f32 v21, -v17, v20, 1.0
	s_delay_alu instid0(VALU_DEP_1) | instskip(SKIP_1) | instid1(VALU_DEP_1)
	v_fmac_f32_e32 v20, v21, v20
	v_div_scale_f32 v21, vcc_lo, v6, s10, v6
	v_mul_f32_e32 v22, v21, v20
	s_delay_alu instid0(VALU_DEP_1) | instskip(NEXT) | instid1(VALU_DEP_1)
	v_fma_f32 v23, -v17, v22, v21
	v_fmac_f32_e32 v22, v23, v20
	s_delay_alu instid0(VALU_DEP_1) | instskip(NEXT) | instid1(VALU_DEP_1)
	v_fma_f32 v17, -v17, v22, v21
	v_div_fmas_f32 v17, v17, v20, v22
	s_delay_alu instid0(VALU_DEP_1) | instskip(NEXT) | instid1(VALU_DEP_1)
	v_div_fixup_f32 v17, v17, s10, v6
	v_and_b32_e32 v6, 0x7f800000, v17
	s_delay_alu instid0(VALU_DEP_1)
	v_cmp_ne_u64_e32 vcc_lo, 0x7f800000, v[6:7]
	v_mov_b32_e32 v6, 0x80
	s_wait_xcnt 0x0
	s_and_saveexec_b32 s35, vcc_lo
	s_cbranch_execz .LBB0_11
; %bb.13:                               ;   in Loop: Header=BB0_12 Depth=2
	v_and_b32_e32 v6, 0x7fffffff, v17
	s_delay_alu instid0(VALU_DEP_1) | instskip(SKIP_1) | instid1(SALU_CYCLE_1)
	v_cmp_gt_u64_e32 vcc_lo, 0x43700001, v[6:7]
                                        ; implicit-def: $vgpr6
	s_and_saveexec_b32 s0, vcc_lo
	s_xor_b32 s36, exec_lo, s0
	s_cbranch_execz .LBB0_23
; %bb.14:                               ;   in Loop: Header=BB0_12 Depth=2
	v_mov_b32_e32 v6, 0
	s_mov_b32 s37, exec_lo
	v_cmpx_ne_u32_e32 0, v17
	s_cbranch_execz .LBB0_22
; %bb.15:                               ;   in Loop: Header=BB0_12 Depth=2
	v_bfe_u32 v24, v17, 23, 8
	s_delay_alu instid0(VALU_DEP_1) | instskip(SKIP_1) | instid1(VALU_DEP_2)
	v_sub_nc_u32_e32 v6, 0x78, v24
	v_cmp_gt_u32_e32 vcc_lo, 0x79, v24
	v_cndmask_b32_e32 v6, 0, v6, vcc_lo
	v_cmp_eq_u32_e32 vcc_lo, 0, v24
	s_delay_alu instid0(VALU_DEP_2) | instskip(SKIP_1) | instid1(VALU_DEP_2)
	v_cndmask_b32_e64 v25, v6, 0x77, vcc_lo
	v_and_b32_e32 v6, 0x7fffff, v17
	v_add_nc_u32_e32 v20, 20, v25
	s_delay_alu instid0(VALU_DEP_2) | instskip(SKIP_1) | instid1(VALU_DEP_3)
	v_or_b32_e32 v22, 0x800000, v6
	v_add_nc_u32_e32 v23, 19, v25
	v_lshlrev_b64_e64 v[20:21], v20, -1
	s_delay_alu instid0(VALU_DEP_3) | instskip(NEXT) | instid1(VALU_DEP_3)
	v_cndmask_b32_e32 v6, v22, v6, vcc_lo
	v_lshlrev_b64_e64 v[22:23], v23, 1
	s_delay_alu instid0(VALU_DEP_3) | instskip(NEXT) | instid1(VALU_DEP_3)
	v_bfi_b32 v27, v21, 0, 0
	v_bfi_b32 v26, v20, 0, v6
	v_lshrrev_b64 v[20:21], v25, v[6:7]
	s_delay_alu instid0(VALU_DEP_2) | instskip(NEXT) | instid1(VALU_DEP_2)
	v_cmp_eq_u64_e64 s0, v[26:27], v[22:23]
	v_mov_b64_e32 v[22:23], v[20:21]
	s_and_saveexec_b32 s38, s0
; %bb.16:                               ;   in Loop: Header=BB0_12 Depth=2
	v_bfe_u32 v6, v20, 20, 1
	s_delay_alu instid0(VALU_DEP_1) | instskip(NEXT) | instid1(VALU_DEP_1)
	v_add_nc_u64_e32 v[22:23], v[20:21], v[6:7]
	v_add_nc_u64_e32 v[22:23], -1, v[22:23]
; %bb.17:                               ;   in Loop: Header=BB0_12 Depth=2
	s_or_b32 exec_lo, exec_lo, s38
	v_add_nc_u32_e32 v6, 0xffffff81, v24
	v_lshrrev_b32_e32 v21, 23, v20
	s_mov_b32 s0, exec_lo
	s_delay_alu instid0(VALU_DEP_2) | instskip(NEXT) | instid1(VALU_DEP_1)
	v_cndmask_b32_e64 v6, v6, 0xffffff82, vcc_lo
	v_add3_u32 v23, v25, v6, v21
	v_and_b32_e32 v6, 0xfffff, v22
                                        ; implicit-def: $vgpr22
	s_delay_alu instid0(VALU_DEP_1) | instskip(NEXT) | instid1(VALU_DEP_1)
	v_dual_add_nc_u32 v24, 7, v23 :: v_dual_add_nc_u32 v6, v6, v20
                                        ; implicit-def: $vgpr20_vgpr21
	v_cmpx_ne_u32_e32 0, v24
	s_xor_b32 s0, exec_lo, s0
; %bb.18:                               ;   in Loop: Header=BB0_12 Depth=2
	s_delay_alu instid0(VALU_DEP_2) | instskip(SKIP_1) | instid1(VALU_DEP_1)
	v_cmp_lt_u64_e32 vcc_lo, 0xffffff, v[6:7]
	v_add_nc_u32_e32 v20, 8, v23
	v_cndmask_b32_e32 v22, v24, v20, vcc_lo
	v_cndmask_b32_e64 v20, 0, 1, vcc_lo
	s_delay_alu instid0(VALU_DEP_1)
	v_lshrrev_b64 v[20:21], v20, v[6:7]
; %bb.19:                               ;   in Loop: Header=BB0_12 Depth=2
	s_and_not1_saveexec_b32 s0, s0
; %bb.20:                               ;   in Loop: Header=BB0_12 Depth=2
	v_mov_b64_e32 v[20:21], v[6:7]
	v_bfe_u32 v22, v6, 23, 1
; %bb.21:                               ;   in Loop: Header=BB0_12 Depth=2
	s_or_b32 exec_lo, exec_lo, s0
	s_delay_alu instid0(VALU_DEP_2) | instskip(NEXT) | instid1(VALU_DEP_2)
	v_lshrrev_b64 v[20:21], 20, v[20:21]
	v_dual_lshrrev_b32 v6, 24, v17 :: v_dual_min_i32 v17, 15, v22
	v_cmp_gt_i32_e32 vcc_lo, 16, v22
	v_cmp_eq_u32_e64 s0, 0, v22
	s_delay_alu instid0(VALU_DEP_3) | instskip(SKIP_1) | instid1(VALU_DEP_2)
	v_and_b32_e32 v6, 0x80, v6
	v_dual_cndmask_b32 v21, 0, v21 :: v_dual_cndmask_b32 v20, 7, v20
	v_lshl_or_b32 v6, v17, 3, v6
	s_delay_alu instid0(VALU_DEP_2) | instskip(NEXT) | instid1(VALU_DEP_2)
	v_cmp_eq_u64_e32 vcc_lo, 0, v[20:21]
	v_and_or_b32 v6, v20, 7, v6
	s_and_b32 s0, s0, vcc_lo
	s_delay_alu instid0(VALU_DEP_1) | instid1(SALU_CYCLE_1)
	v_cndmask_b32_e64 v6, v6, 0, s0
.LBB0_22:                               ;   in Loop: Header=BB0_12 Depth=2
	s_or_b32 exec_lo, exec_lo, s37
                                        ; implicit-def: $vgpr17
.LBB0_23:                               ;   in Loop: Header=BB0_12 Depth=2
	s_and_not1_saveexec_b32 s0, s36
	s_cbranch_execz .LBB0_10
; %bb.24:                               ;   in Loop: Header=BB0_12 Depth=2
	v_lshrrev_b32_e32 v6, 24, v17
	s_delay_alu instid0(VALU_DEP_1)
	v_or_b32_e32 v6, 0x7f, v6
	s_branch .LBB0_10
.LBB0_25:                               ;   in Loop: Header=BB0_7 Depth=1
	s_or_b32 exec_lo, exec_lo, s25
	v_dual_sub_nc_u32 v1, s9, v16 :: v_dual_ashrrev_i32 v17, 31, v16
	s_mov_b32 s25, exec_lo
	s_delay_alu instid0(VALU_DEP_1) | instskip(NEXT) | instid1(VALU_DEP_1)
	v_ashrrev_i32_e32 v4, 31, v1
	v_lshrrev_b32_e32 v4, 30, v4
	s_delay_alu instid0(VALU_DEP_1) | instskip(NEXT) | instid1(VALU_DEP_1)
	v_add_nc_u32_e32 v4, v1, v4
	v_ashrrev_i32_e32 v26, 2, v4
	v_cmpx_lt_i32_e32 3, v1
	s_cbranch_execz .LBB0_84
; %bb.26:                               ;   in Loop: Header=BB0_7 Depth=1
	v_add_nc_u64_e32 v[4:5], v[16:17], v[12:13]
	v_lshl_add_u64 v[20:21], v[16:17], 2, v[2:3]
	v_mov_b32_e32 v27, v26
	s_mov_b32 s34, 0
	s_delay_alu instid0(VALU_DEP_3) | instskip(NEXT) | instid1(VALU_DEP_1)
	v_add_nc_u64_e32 v[4:5], v[4:5], v[14:15]
	v_add_nc_u64_e32 v[18:19], s[16:17], v[4:5]
	s_branch .LBB0_29
.LBB0_27:                               ;   in Loop: Header=BB0_29 Depth=2
	s_or_b32 exec_lo, exec_lo, s0
.LBB0_28:                               ;   in Loop: Header=BB0_29 Depth=2
	s_delay_alu instid0(SALU_CYCLE_1) | instskip(NEXT) | instid1(VALU_DEP_1)
	s_or_b32 exec_lo, exec_lo, s35
	v_dual_lshlrev_b32 v2, 24, v4 :: v_dual_lshlrev_b32 v3, 16, v22
	v_lshl_or_b32 v4, v28, 8, v24
	v_add_nc_u32_e32 v27, -1, v27
	v_add_nc_u64_e32 v[20:21], 16, v[20:21]
	s_delay_alu instid0(VALU_DEP_3) | instskip(NEXT) | instid1(VALU_DEP_3)
	v_or3_b32 v2, v4, v3, v2
	v_cmp_eq_u32_e32 vcc_lo, 0, v27
	global_store_b32 v[18:19], v2, off
	s_wait_xcnt 0x0
	v_add_nc_u64_e32 v[18:19], 4, v[18:19]
	s_or_b32 s34, vcc_lo, s34
	s_delay_alu instid0(SALU_CYCLE_1)
	s_and_not1_b32 exec_lo, exec_lo, s34
	s_cbranch_execz .LBB0_84
.LBB0_29:                               ;   Parent Loop BB0_7 Depth=1
                                        ; =>  This Inner Loop Header: Depth=2
	global_load_b128 v[2:5], v[20:21], off
	v_mov_b32_e32 v28, 0x80
	s_mov_b32 s35, exec_lo
	s_wait_loadcnt 0x0
	v_div_scale_f32 v6, null, s10, s10, v2
	s_delay_alu instid0(VALU_DEP_1) | instskip(SKIP_1) | instid1(TRANS32_DEP_1)
	v_rcp_f32_e32 v22, v6
	v_nop
	v_fma_f32 v23, -v6, v22, 1.0
	s_delay_alu instid0(VALU_DEP_1) | instskip(SKIP_1) | instid1(VALU_DEP_1)
	v_fmac_f32_e32 v22, v23, v22
	v_div_scale_f32 v23, vcc_lo, v2, s10, v2
	v_mul_f32_e32 v24, v23, v22
	s_delay_alu instid0(VALU_DEP_1) | instskip(NEXT) | instid1(VALU_DEP_1)
	v_fma_f32 v25, -v6, v24, v23
	v_fmac_f32_e32 v24, v25, v22
	s_delay_alu instid0(VALU_DEP_1) | instskip(NEXT) | instid1(VALU_DEP_1)
	v_fma_f32 v6, -v6, v24, v23
	v_div_fmas_f32 v6, v6, v22, v24
	v_mov_b32_e32 v24, 0x80
	s_delay_alu instid0(VALU_DEP_2) | instskip(NEXT) | instid1(VALU_DEP_1)
	v_div_fixup_f32 v22, v6, s10, v2
	v_and_b32_e32 v6, 0x7f800000, v22
	s_wait_xcnt 0x0
	s_delay_alu instid0(VALU_DEP_1)
	v_cmpx_ne_u64_e32 0x7f800000, v[6:7]
	s_cbranch_execz .LBB0_43
; %bb.30:                               ;   in Loop: Header=BB0_29 Depth=2
	v_and_b32_e32 v6, 0x7fffffff, v22
	v_lshrrev_b32_e32 v2, 24, v22
                                        ; implicit-def: $vgpr24
	s_mov_b32 s0, exec_lo
	s_delay_alu instid0(VALU_DEP_2)
	v_cmpx_gt_u64_e32 0x43700001, v[6:7]
	s_xor_b32 s36, exec_lo, s0
	s_cbranch_execz .LBB0_40
; %bb.31:                               ;   in Loop: Header=BB0_29 Depth=2
	v_mov_b32_e32 v24, 0
	s_mov_b32 s37, exec_lo
	v_cmpx_ne_u32_e32 0, v22
	s_cbranch_execz .LBB0_39
; %bb.32:                               ;   in Loop: Header=BB0_29 Depth=2
	v_bfe_u32 v29, v22, 23, 8
	s_delay_alu instid0(VALU_DEP_1) | instskip(SKIP_1) | instid1(VALU_DEP_2)
	v_sub_nc_u32_e32 v6, 0x78, v29
	v_cmp_gt_u32_e32 vcc_lo, 0x79, v29
	v_cndmask_b32_e32 v6, 0, v6, vcc_lo
	v_cmp_eq_u32_e32 vcc_lo, 0, v29
	s_delay_alu instid0(VALU_DEP_2) | instskip(SKIP_1) | instid1(VALU_DEP_2)
	v_cndmask_b32_e64 v30, v6, 0x77, vcc_lo
	v_and_b32_e32 v6, 0x7fffff, v22
	v_dual_add_nc_u32 v22, 20, v30 :: v_dual_add_nc_u32 v25, 19, v30
	s_delay_alu instid0(VALU_DEP_2) | instskip(NEXT) | instid1(VALU_DEP_2)
	v_or_b32_e32 v24, 0x800000, v6
	v_lshlrev_b64_e64 v[22:23], v22, -1
	s_delay_alu instid0(VALU_DEP_2) | instskip(NEXT) | instid1(VALU_DEP_4)
	v_cndmask_b32_e32 v6, v24, v6, vcc_lo
	v_lshlrev_b64_e64 v[24:25], v25, 1
	s_delay_alu instid0(VALU_DEP_3) | instskip(NEXT) | instid1(VALU_DEP_3)
	v_bfi_b32 v33, v23, 0, 0
	v_bfi_b32 v32, v22, 0, v6
	v_lshrrev_b64 v[22:23], v30, v[6:7]
	s_delay_alu instid0(VALU_DEP_2) | instskip(NEXT) | instid1(VALU_DEP_2)
	v_cmp_eq_u64_e64 s0, v[32:33], v[24:25]
	v_mov_b64_e32 v[24:25], v[22:23]
	s_and_saveexec_b32 s38, s0
; %bb.33:                               ;   in Loop: Header=BB0_29 Depth=2
	v_bfe_u32 v6, v22, 20, 1
	s_delay_alu instid0(VALU_DEP_1) | instskip(NEXT) | instid1(VALU_DEP_1)
	v_add_nc_u64_e32 v[24:25], v[22:23], v[6:7]
	v_add_nc_u64_e32 v[24:25], -1, v[24:25]
; %bb.34:                               ;   in Loop: Header=BB0_29 Depth=2
	s_or_b32 exec_lo, exec_lo, s38
	v_add_nc_u32_e32 v6, 0xffffff81, v29
	v_lshrrev_b32_e32 v23, 23, v22
	s_mov_b32 s0, exec_lo
	s_delay_alu instid0(VALU_DEP_2) | instskip(NEXT) | instid1(VALU_DEP_1)
	v_cndmask_b32_e64 v6, v6, 0xffffff82, vcc_lo
	v_add3_u32 v25, v30, v6, v23
	v_and_b32_e32 v6, 0xfffff, v24
                                        ; implicit-def: $vgpr24
	s_delay_alu instid0(VALU_DEP_1) | instskip(NEXT) | instid1(VALU_DEP_1)
	v_dual_add_nc_u32 v29, 7, v25 :: v_dual_add_nc_u32 v6, v6, v22
                                        ; implicit-def: $vgpr22_vgpr23
	v_cmpx_ne_u32_e32 0, v29
	s_xor_b32 s0, exec_lo, s0
; %bb.35:                               ;   in Loop: Header=BB0_29 Depth=2
	s_delay_alu instid0(VALU_DEP_2) | instskip(SKIP_1) | instid1(VALU_DEP_1)
	v_cmp_lt_u64_e32 vcc_lo, 0xffffff, v[6:7]
	v_add_nc_u32_e32 v22, 8, v25
	v_cndmask_b32_e32 v24, v29, v22, vcc_lo
	v_cndmask_b32_e64 v22, 0, 1, vcc_lo
	s_delay_alu instid0(VALU_DEP_1)
	v_lshrrev_b64 v[22:23], v22, v[6:7]
; %bb.36:                               ;   in Loop: Header=BB0_29 Depth=2
	s_and_not1_saveexec_b32 s0, s0
; %bb.37:                               ;   in Loop: Header=BB0_29 Depth=2
	v_mov_b64_e32 v[22:23], v[6:7]
	v_bfe_u32 v24, v6, 23, 1
; %bb.38:                               ;   in Loop: Header=BB0_29 Depth=2
	s_or_b32 exec_lo, exec_lo, s0
	s_delay_alu instid0(VALU_DEP_2) | instskip(NEXT) | instid1(VALU_DEP_2)
	v_lshrrev_b64 v[22:23], 20, v[22:23]
	v_cmp_gt_i32_e32 vcc_lo, 16, v24
	v_min_i32_e32 v6, 15, v24
	v_and_b32_e32 v2, 0x80, v2
	v_cmp_eq_u32_e64 s0, 0, v24
	v_dual_cndmask_b32 v23, 0, v23 :: v_dual_cndmask_b32 v22, 7, v22
	s_delay_alu instid0(VALU_DEP_4) | instskip(NEXT) | instid1(VALU_DEP_2)
	v_lshlrev_b32_e32 v6, 3, v6
	v_and_b32_e32 v25, 7, v22
	s_delay_alu instid0(VALU_DEP_2) | instskip(NEXT) | instid1(VALU_DEP_4)
	v_and_b32_e32 v6, 0xf8, v6
	v_cmp_eq_u64_e32 vcc_lo, 0, v[22:23]
	s_delay_alu instid0(VALU_DEP_2)
	v_or3_b32 v2, v6, v2, v25
	s_and_b32 s0, s0, vcc_lo
	s_delay_alu instid0(VALU_DEP_1) | instid1(SALU_CYCLE_1)
	v_cndmask_b32_e64 v24, v2, 0, s0
.LBB0_39:                               ;   in Loop: Header=BB0_29 Depth=2
	s_or_b32 exec_lo, exec_lo, s37
                                        ; implicit-def: $vgpr2
.LBB0_40:                               ;   in Loop: Header=BB0_29 Depth=2
	s_and_not1_saveexec_b32 s0, s36
; %bb.41:                               ;   in Loop: Header=BB0_29 Depth=2
	v_or_b32_e32 v24, 0x7f, v2
; %bb.42:                               ;   in Loop: Header=BB0_29 Depth=2
	s_or_b32 exec_lo, exec_lo, s0
.LBB0_43:                               ;   in Loop: Header=BB0_29 Depth=2
	s_delay_alu instid0(SALU_CYCLE_1) | instskip(SKIP_4) | instid1(TRANS32_DEP_1)
	s_or_b32 exec_lo, exec_lo, s35
	v_div_scale_f32 v2, null, s10, s10, v3
	s_mov_b32 s35, exec_lo
	v_rcp_f32_e32 v6, v2
	v_nop
	v_fma_f32 v22, -v2, v6, 1.0
	s_delay_alu instid0(VALU_DEP_1) | instskip(SKIP_1) | instid1(VALU_DEP_1)
	v_fmac_f32_e32 v6, v22, v6
	v_div_scale_f32 v22, vcc_lo, v3, s10, v3
	v_mul_f32_e32 v23, v22, v6
	s_delay_alu instid0(VALU_DEP_1) | instskip(NEXT) | instid1(VALU_DEP_1)
	v_fma_f32 v25, -v2, v23, v22
	v_fmac_f32_e32 v23, v25, v6
	s_delay_alu instid0(VALU_DEP_1) | instskip(NEXT) | instid1(VALU_DEP_1)
	v_fma_f32 v2, -v2, v23, v22
	v_div_fmas_f32 v2, v2, v6, v23
	s_delay_alu instid0(VALU_DEP_1) | instskip(NEXT) | instid1(VALU_DEP_1)
	v_div_fixup_f32 v2, v2, s10, v3
	v_and_b32_e32 v6, 0x7f800000, v2
	s_delay_alu instid0(VALU_DEP_1)
	v_cmpx_ne_u64_e32 0x7f800000, v[6:7]
	s_cbranch_execz .LBB0_57
; %bb.44:                               ;   in Loop: Header=BB0_29 Depth=2
	v_and_b32_e32 v6, 0x7fffffff, v2
	v_lshrrev_b32_e32 v25, 24, v2
                                        ; implicit-def: $vgpr28
	s_mov_b32 s0, exec_lo
	s_delay_alu instid0(VALU_DEP_2)
	v_cmpx_gt_u64_e32 0x43700001, v[6:7]
	s_xor_b32 s36, exec_lo, s0
	s_cbranch_execz .LBB0_54
; %bb.45:                               ;   in Loop: Header=BB0_29 Depth=2
	v_mov_b32_e32 v28, 0
	s_mov_b32 s37, exec_lo
	v_cmpx_ne_u32_e32 0, v2
	s_cbranch_execz .LBB0_53
; %bb.46:                               ;   in Loop: Header=BB0_29 Depth=2
	v_bfe_u32 v28, v2, 23, 8
	v_and_b32_e32 v6, 0x7fffff, v2
	s_delay_alu instid0(VALU_DEP_2) | instskip(NEXT) | instid1(VALU_DEP_2)
	v_cmp_gt_u32_e32 vcc_lo, 0x79, v28
	v_or_b32_e32 v22, 0x800000, v6
	v_sub_nc_u32_e32 v3, 0x78, v28
	s_delay_alu instid0(VALU_DEP_1) | instskip(SKIP_1) | instid1(VALU_DEP_2)
	v_cndmask_b32_e32 v3, 0, v3, vcc_lo
	v_cmp_eq_u32_e32 vcc_lo, 0, v28
	v_cndmask_b32_e64 v29, v3, 0x77, vcc_lo
	s_delay_alu instid0(VALU_DEP_1) | instskip(SKIP_1) | instid1(VALU_DEP_2)
	v_dual_cndmask_b32 v6, v22, v6, vcc_lo :: v_dual_add_nc_u32 v2, 20, v29
	v_add_nc_u32_e32 v23, 19, v29
	v_lshlrev_b64_e64 v[2:3], v2, -1
	s_delay_alu instid0(VALU_DEP_2) | instskip(NEXT) | instid1(VALU_DEP_2)
	v_lshlrev_b64_e64 v[22:23], v23, 1
	v_bfi_b32 v31, v3, 0, 0
	s_delay_alu instid0(VALU_DEP_3) | instskip(SKIP_1) | instid1(VALU_DEP_2)
	v_bfi_b32 v30, v2, 0, v6
	v_lshrrev_b64 v[2:3], v29, v[6:7]
	v_cmp_eq_u64_e64 s0, v[30:31], v[22:23]
	s_delay_alu instid0(VALU_DEP_2)
	v_mov_b64_e32 v[22:23], v[2:3]
	s_and_saveexec_b32 s38, s0
; %bb.47:                               ;   in Loop: Header=BB0_29 Depth=2
	v_bfe_u32 v6, v2, 20, 1
	s_delay_alu instid0(VALU_DEP_1) | instskip(NEXT) | instid1(VALU_DEP_1)
	v_add_nc_u64_e32 v[22:23], v[2:3], v[6:7]
	v_add_nc_u64_e32 v[22:23], -1, v[22:23]
; %bb.48:                               ;   in Loop: Header=BB0_29 Depth=2
	s_or_b32 exec_lo, exec_lo, s38
	v_add_nc_u32_e32 v3, 0xffffff81, v28
	v_lshrrev_b32_e32 v6, 23, v2
	s_mov_b32 s0, exec_lo
	s_delay_alu instid0(VALU_DEP_2) | instskip(NEXT) | instid1(VALU_DEP_1)
	v_cndmask_b32_e64 v3, v3, 0xffffff82, vcc_lo
	v_add3_u32 v23, v29, v3, v6
	v_and_b32_e32 v3, 0xfffff, v22
                                        ; implicit-def: $vgpr22
	s_delay_alu instid0(VALU_DEP_1) | instskip(NEXT) | instid1(VALU_DEP_1)
	v_dual_add_nc_u32 v28, 7, v23 :: v_dual_add_nc_u32 v6, v3, v2
                                        ; implicit-def: $vgpr2_vgpr3
	v_cmpx_ne_u32_e32 0, v28
	s_xor_b32 s0, exec_lo, s0
; %bb.49:                               ;   in Loop: Header=BB0_29 Depth=2
	s_delay_alu instid0(VALU_DEP_2) | instskip(SKIP_1) | instid1(VALU_DEP_1)
	v_cmp_lt_u64_e32 vcc_lo, 0xffffff, v[6:7]
	v_add_nc_u32_e32 v2, 8, v23
	v_cndmask_b32_e32 v22, v28, v2, vcc_lo
	v_cndmask_b32_e64 v2, 0, 1, vcc_lo
	s_delay_alu instid0(VALU_DEP_1)
	v_lshrrev_b64 v[2:3], v2, v[6:7]
; %bb.50:                               ;   in Loop: Header=BB0_29 Depth=2
	s_and_not1_saveexec_b32 s0, s0
; %bb.51:                               ;   in Loop: Header=BB0_29 Depth=2
	v_mov_b64_e32 v[2:3], v[6:7]
	v_bfe_u32 v22, v6, 23, 1
; %bb.52:                               ;   in Loop: Header=BB0_29 Depth=2
	s_or_b32 exec_lo, exec_lo, s0
	s_delay_alu instid0(VALU_DEP_2) | instskip(NEXT) | instid1(VALU_DEP_2)
	v_lshrrev_b64 v[2:3], 20, v[2:3]
	v_cmp_gt_i32_e32 vcc_lo, 16, v22
	v_min_i32_e32 v6, 15, v22
	v_and_b32_e32 v23, 0x80, v25
	v_cmp_eq_u32_e64 s0, 0, v22
	v_dual_cndmask_b32 v3, 0, v3 :: v_dual_cndmask_b32 v2, 7, v2
	s_delay_alu instid0(VALU_DEP_4) | instskip(NEXT) | instid1(VALU_DEP_2)
	v_lshlrev_b32_e32 v6, 3, v6
	v_and_b32_e32 v25, 7, v2
	s_delay_alu instid0(VALU_DEP_2) | instskip(NEXT) | instid1(VALU_DEP_4)
	v_and_b32_e32 v6, 0xf8, v6
	v_cmp_eq_u64_e32 vcc_lo, 0, v[2:3]
	s_delay_alu instid0(VALU_DEP_2)
	v_or3_b32 v2, v6, v23, v25
	s_and_b32 s0, s0, vcc_lo
	s_delay_alu instid0(VALU_DEP_1) | instid1(SALU_CYCLE_1)
	v_cndmask_b32_e64 v28, v2, 0, s0
.LBB0_53:                               ;   in Loop: Header=BB0_29 Depth=2
	s_or_b32 exec_lo, exec_lo, s37
                                        ; implicit-def: $vgpr25
.LBB0_54:                               ;   in Loop: Header=BB0_29 Depth=2
	s_and_not1_saveexec_b32 s0, s36
; %bb.55:                               ;   in Loop: Header=BB0_29 Depth=2
	v_or_b32_e32 v28, 0x7f, v25
; %bb.56:                               ;   in Loop: Header=BB0_29 Depth=2
	s_or_b32 exec_lo, exec_lo, s0
.LBB0_57:                               ;   in Loop: Header=BB0_29 Depth=2
	s_delay_alu instid0(SALU_CYCLE_1) | instskip(SKIP_4) | instid1(TRANS32_DEP_1)
	s_or_b32 exec_lo, exec_lo, s35
	v_div_scale_f32 v2, null, s10, s10, v4
	s_mov_b32 s35, exec_lo
	v_rcp_f32_e32 v3, v2
	v_nop
	v_fma_f32 v6, -v2, v3, 1.0
	s_delay_alu instid0(VALU_DEP_1) | instskip(SKIP_1) | instid1(VALU_DEP_1)
	v_fmac_f32_e32 v3, v6, v3
	v_div_scale_f32 v6, vcc_lo, v4, s10, v4
	v_mul_f32_e32 v22, v6, v3
	s_delay_alu instid0(VALU_DEP_1) | instskip(NEXT) | instid1(VALU_DEP_1)
	v_fma_f32 v23, -v2, v22, v6
	v_fmac_f32_e32 v22, v23, v3
	s_delay_alu instid0(VALU_DEP_1) | instskip(NEXT) | instid1(VALU_DEP_1)
	v_fma_f32 v2, -v2, v22, v6
	v_div_fmas_f32 v2, v2, v3, v22
	v_mov_b32_e32 v22, 0x80
	s_delay_alu instid0(VALU_DEP_2) | instskip(SKIP_1) | instid1(VALU_DEP_2)
	v_div_fixup_f32 v2, v2, s10, v4
	v_mov_b32_e32 v4, 0x80
	v_and_b32_e32 v6, 0x7f800000, v2
	s_delay_alu instid0(VALU_DEP_1)
	v_cmpx_ne_u64_e32 0x7f800000, v[6:7]
	s_cbranch_execz .LBB0_71
; %bb.58:                               ;   in Loop: Header=BB0_29 Depth=2
	v_and_b32_e32 v6, 0x7fffffff, v2
	v_lshrrev_b32_e32 v25, 24, v2
                                        ; implicit-def: $vgpr22
	s_mov_b32 s0, exec_lo
	s_delay_alu instid0(VALU_DEP_2)
	v_cmpx_gt_u64_e32 0x43700001, v[6:7]
	s_xor_b32 s36, exec_lo, s0
	s_cbranch_execz .LBB0_68
; %bb.59:                               ;   in Loop: Header=BB0_29 Depth=2
	v_mov_b32_e32 v22, 0
	s_mov_b32 s37, exec_lo
	v_cmpx_ne_u32_e32 0, v2
	s_cbranch_execz .LBB0_67
; %bb.60:                               ;   in Loop: Header=BB0_29 Depth=2
	v_bfe_u32 v29, v2, 23, 8
	v_and_b32_e32 v6, 0x7fffff, v2
	s_delay_alu instid0(VALU_DEP_2) | instskip(NEXT) | instid1(VALU_DEP_2)
	v_cmp_gt_u32_e32 vcc_lo, 0x79, v29
	v_or_b32_e32 v22, 0x800000, v6
	v_sub_nc_u32_e32 v3, 0x78, v29
	s_delay_alu instid0(VALU_DEP_1) | instskip(SKIP_1) | instid1(VALU_DEP_2)
	v_cndmask_b32_e32 v3, 0, v3, vcc_lo
	v_cmp_eq_u32_e32 vcc_lo, 0, v29
	v_cndmask_b32_e64 v30, v3, 0x77, vcc_lo
	v_cndmask_b32_e32 v6, v22, v6, vcc_lo
	s_delay_alu instid0(VALU_DEP_2) | instskip(NEXT) | instid1(VALU_DEP_1)
	v_dual_add_nc_u32 v2, 20, v30 :: v_dual_add_nc_u32 v23, 19, v30
	v_lshlrev_b64_e64 v[2:3], v2, -1
	s_delay_alu instid0(VALU_DEP_2) | instskip(NEXT) | instid1(VALU_DEP_2)
	v_lshlrev_b64_e64 v[22:23], v23, 1
	v_bfi_b32 v33, v3, 0, 0
	s_delay_alu instid0(VALU_DEP_3) | instskip(SKIP_1) | instid1(VALU_DEP_2)
	v_bfi_b32 v32, v2, 0, v6
	v_lshrrev_b64 v[2:3], v30, v[6:7]
	v_cmp_eq_u64_e64 s0, v[32:33], v[22:23]
	s_delay_alu instid0(VALU_DEP_2)
	v_mov_b64_e32 v[22:23], v[2:3]
	s_and_saveexec_b32 s38, s0
; %bb.61:                               ;   in Loop: Header=BB0_29 Depth=2
	v_bfe_u32 v6, v2, 20, 1
	s_delay_alu instid0(VALU_DEP_1) | instskip(NEXT) | instid1(VALU_DEP_1)
	v_add_nc_u64_e32 v[22:23], v[2:3], v[6:7]
	v_add_nc_u64_e32 v[22:23], -1, v[22:23]
; %bb.62:                               ;   in Loop: Header=BB0_29 Depth=2
	s_or_b32 exec_lo, exec_lo, s38
	v_add_nc_u32_e32 v3, 0xffffff81, v29
	v_lshrrev_b32_e32 v6, 23, v2
	s_mov_b32 s0, exec_lo
	s_delay_alu instid0(VALU_DEP_2) | instskip(NEXT) | instid1(VALU_DEP_1)
	v_cndmask_b32_e64 v3, v3, 0xffffff82, vcc_lo
	v_add3_u32 v23, v30, v3, v6
	v_and_b32_e32 v3, 0xfffff, v22
                                        ; implicit-def: $vgpr22
	s_delay_alu instid0(VALU_DEP_1) | instskip(NEXT) | instid1(VALU_DEP_1)
	v_dual_add_nc_u32 v29, 7, v23 :: v_dual_add_nc_u32 v6, v3, v2
                                        ; implicit-def: $vgpr2_vgpr3
	v_cmpx_ne_u32_e32 0, v29
	s_xor_b32 s0, exec_lo, s0
; %bb.63:                               ;   in Loop: Header=BB0_29 Depth=2
	s_delay_alu instid0(VALU_DEP_2) | instskip(SKIP_1) | instid1(VALU_DEP_1)
	v_cmp_lt_u64_e32 vcc_lo, 0xffffff, v[6:7]
	v_add_nc_u32_e32 v2, 8, v23
	v_cndmask_b32_e32 v22, v29, v2, vcc_lo
	v_cndmask_b32_e64 v2, 0, 1, vcc_lo
	s_delay_alu instid0(VALU_DEP_1)
	v_lshrrev_b64 v[2:3], v2, v[6:7]
; %bb.64:                               ;   in Loop: Header=BB0_29 Depth=2
	s_and_not1_saveexec_b32 s0, s0
; %bb.65:                               ;   in Loop: Header=BB0_29 Depth=2
	v_mov_b64_e32 v[2:3], v[6:7]
	v_bfe_u32 v22, v6, 23, 1
; %bb.66:                               ;   in Loop: Header=BB0_29 Depth=2
	s_or_b32 exec_lo, exec_lo, s0
	s_delay_alu instid0(VALU_DEP_2) | instskip(NEXT) | instid1(VALU_DEP_2)
	v_lshrrev_b64 v[2:3], 20, v[2:3]
	v_cmp_gt_i32_e32 vcc_lo, 16, v22
	v_min_i32_e32 v6, 15, v22
	v_and_b32_e32 v23, 0x80, v25
	v_cmp_eq_u32_e64 s0, 0, v22
	v_dual_cndmask_b32 v3, 0, v3 :: v_dual_cndmask_b32 v2, 7, v2
	s_delay_alu instid0(VALU_DEP_4) | instskip(NEXT) | instid1(VALU_DEP_2)
	v_lshlrev_b32_e32 v6, 3, v6
	v_and_b32_e32 v25, 7, v2
	s_delay_alu instid0(VALU_DEP_2) | instskip(NEXT) | instid1(VALU_DEP_4)
	v_and_b32_e32 v6, 0xf8, v6
	v_cmp_eq_u64_e32 vcc_lo, 0, v[2:3]
	s_delay_alu instid0(VALU_DEP_2)
	v_or3_b32 v2, v6, v23, v25
	s_and_b32 s0, s0, vcc_lo
	s_delay_alu instid0(VALU_DEP_1) | instid1(SALU_CYCLE_1)
	v_cndmask_b32_e64 v22, v2, 0, s0
.LBB0_67:                               ;   in Loop: Header=BB0_29 Depth=2
	s_or_b32 exec_lo, exec_lo, s37
                                        ; implicit-def: $vgpr25
.LBB0_68:                               ;   in Loop: Header=BB0_29 Depth=2
	s_and_not1_saveexec_b32 s0, s36
; %bb.69:                               ;   in Loop: Header=BB0_29 Depth=2
	v_or_b32_e32 v22, 0x7f, v25
; %bb.70:                               ;   in Loop: Header=BB0_29 Depth=2
	s_or_b32 exec_lo, exec_lo, s0
.LBB0_71:                               ;   in Loop: Header=BB0_29 Depth=2
	s_delay_alu instid0(SALU_CYCLE_1) | instskip(SKIP_4) | instid1(TRANS32_DEP_1)
	s_or_b32 exec_lo, exec_lo, s35
	v_div_scale_f32 v2, null, s10, s10, v5
	s_mov_b32 s35, exec_lo
	v_rcp_f32_e32 v3, v2
	v_nop
	v_fma_f32 v6, -v2, v3, 1.0
	s_delay_alu instid0(VALU_DEP_1) | instskip(SKIP_1) | instid1(VALU_DEP_1)
	v_fmac_f32_e32 v3, v6, v3
	v_div_scale_f32 v6, vcc_lo, v5, s10, v5
	v_mul_f32_e32 v23, v6, v3
	s_delay_alu instid0(VALU_DEP_1) | instskip(NEXT) | instid1(VALU_DEP_1)
	v_fma_f32 v25, -v2, v23, v6
	v_fmac_f32_e32 v23, v25, v3
	s_delay_alu instid0(VALU_DEP_1) | instskip(NEXT) | instid1(VALU_DEP_1)
	v_fma_f32 v2, -v2, v23, v6
	v_div_fmas_f32 v2, v2, v3, v23
	s_delay_alu instid0(VALU_DEP_1) | instskip(NEXT) | instid1(VALU_DEP_1)
	v_div_fixup_f32 v2, v2, s10, v5
	v_and_b32_e32 v6, 0x7f800000, v2
	s_delay_alu instid0(VALU_DEP_1)
	v_cmpx_ne_u64_e32 0x7f800000, v[6:7]
	s_cbranch_execz .LBB0_28
; %bb.72:                               ;   in Loop: Header=BB0_29 Depth=2
	v_and_b32_e32 v6, 0x7fffffff, v2
	v_lshrrev_b32_e32 v23, 24, v2
                                        ; implicit-def: $vgpr4
	s_mov_b32 s0, exec_lo
	s_delay_alu instid0(VALU_DEP_2)
	v_cmpx_gt_u64_e32 0x43700001, v[6:7]
	s_xor_b32 s36, exec_lo, s0
	s_cbranch_execz .LBB0_82
; %bb.73:                               ;   in Loop: Header=BB0_29 Depth=2
	v_mov_b32_e32 v4, 0
	s_mov_b32 s37, exec_lo
	v_cmpx_ne_u32_e32 0, v2
	s_cbranch_execz .LBB0_81
; %bb.74:                               ;   in Loop: Header=BB0_29 Depth=2
	v_bfe_u32 v25, v2, 23, 8
	v_and_b32_e32 v4, 0x7fffff, v2
	s_delay_alu instid0(VALU_DEP_2) | instskip(NEXT) | instid1(VALU_DEP_2)
	v_cmp_gt_u32_e32 vcc_lo, 0x79, v25
	v_or_b32_e32 v5, 0x800000, v4
	v_sub_nc_u32_e32 v3, 0x78, v25
	s_delay_alu instid0(VALU_DEP_1) | instskip(SKIP_1) | instid1(VALU_DEP_2)
	v_cndmask_b32_e32 v3, 0, v3, vcc_lo
	v_cmp_eq_u32_e32 vcc_lo, 0, v25
	v_cndmask_b32_e64 v29, v3, 0x77, vcc_lo
	s_delay_alu instid0(VALU_DEP_1) | instskip(SKIP_1) | instid1(VALU_DEP_2)
	v_dual_cndmask_b32 v6, v5, v4, vcc_lo :: v_dual_add_nc_u32 v2, 20, v29
	v_add_nc_u32_e32 v30, 19, v29
	v_lshlrev_b64_e64 v[2:3], v2, -1
	s_delay_alu instid0(VALU_DEP_2) | instskip(NEXT) | instid1(VALU_DEP_2)
	v_lshlrev_b64_e64 v[4:5], v30, 1
	v_bfi_b32 v31, v3, 0, 0
	s_delay_alu instid0(VALU_DEP_3) | instskip(SKIP_1) | instid1(VALU_DEP_2)
	v_bfi_b32 v30, v2, 0, v6
	v_lshrrev_b64 v[2:3], v29, v[6:7]
	v_cmp_eq_u64_e64 s0, v[30:31], v[4:5]
	s_delay_alu instid0(VALU_DEP_2)
	v_mov_b64_e32 v[4:5], v[2:3]
	s_and_saveexec_b32 s38, s0
; %bb.75:                               ;   in Loop: Header=BB0_29 Depth=2
	v_bfe_u32 v6, v2, 20, 1
	s_delay_alu instid0(VALU_DEP_1) | instskip(NEXT) | instid1(VALU_DEP_1)
	v_add_nc_u64_e32 v[4:5], v[2:3], v[6:7]
	v_add_nc_u64_e32 v[4:5], -1, v[4:5]
; %bb.76:                               ;   in Loop: Header=BB0_29 Depth=2
	s_or_b32 exec_lo, exec_lo, s38
	v_add_nc_u32_e32 v3, 0xffffff81, v25
	v_lshrrev_b32_e32 v5, 23, v2
	s_mov_b32 s0, exec_lo
	s_delay_alu instid0(VALU_DEP_2) | instskip(NEXT) | instid1(VALU_DEP_1)
	v_cndmask_b32_e64 v3, v3, 0xffffff82, vcc_lo
	v_add3_u32 v5, v29, v3, v5
	v_and_b32_e32 v3, 0xfffff, v4
                                        ; implicit-def: $vgpr4
	s_delay_alu instid0(VALU_DEP_1) | instskip(NEXT) | instid1(VALU_DEP_1)
	v_dual_add_nc_u32 v25, 7, v5 :: v_dual_add_nc_u32 v6, v3, v2
                                        ; implicit-def: $vgpr2_vgpr3
	v_cmpx_ne_u32_e32 0, v25
	s_xor_b32 s0, exec_lo, s0
; %bb.77:                               ;   in Loop: Header=BB0_29 Depth=2
	s_delay_alu instid0(VALU_DEP_2) | instskip(SKIP_1) | instid1(VALU_DEP_1)
	v_cmp_lt_u64_e32 vcc_lo, 0xffffff, v[6:7]
	v_add_nc_u32_e32 v2, 8, v5
	v_cndmask_b32_e32 v4, v25, v2, vcc_lo
	v_cndmask_b32_e64 v2, 0, 1, vcc_lo
	s_delay_alu instid0(VALU_DEP_1)
	v_lshrrev_b64 v[2:3], v2, v[6:7]
; %bb.78:                               ;   in Loop: Header=BB0_29 Depth=2
	s_and_not1_saveexec_b32 s0, s0
; %bb.79:                               ;   in Loop: Header=BB0_29 Depth=2
	v_mov_b64_e32 v[2:3], v[6:7]
	v_bfe_u32 v4, v6, 23, 1
; %bb.80:                               ;   in Loop: Header=BB0_29 Depth=2
	s_or_b32 exec_lo, exec_lo, s0
	s_delay_alu instid0(VALU_DEP_2) | instskip(NEXT) | instid1(VALU_DEP_2)
	v_lshrrev_b64 v[2:3], 20, v[2:3]
	v_cmp_gt_i32_e32 vcc_lo, 16, v4
	v_min_i32_e32 v5, 15, v4
	v_and_b32_e32 v6, 0x80, v23
	v_cmp_eq_u32_e64 s0, 0, v4
	v_dual_cndmask_b32 v3, 0, v3 :: v_dual_cndmask_b32 v2, 7, v2
	s_delay_alu instid0(VALU_DEP_1) | instskip(NEXT) | instid1(VALU_DEP_1)
	v_dual_lshlrev_b32 v5, 3, v5 :: v_dual_bitop2_b32 v23, 7, v2 bitop3:0x40
	v_and_b32_e32 v5, 0xf8, v5
	s_delay_alu instid0(VALU_DEP_3) | instskip(NEXT) | instid1(VALU_DEP_2)
	v_cmp_eq_u64_e32 vcc_lo, 0, v[2:3]
	v_or3_b32 v2, v5, v6, v23
	s_and_b32 s0, s0, vcc_lo
	s_delay_alu instid0(VALU_DEP_1) | instid1(SALU_CYCLE_1)
	v_cndmask_b32_e64 v4, v2, 0, s0
.LBB0_81:                               ;   in Loop: Header=BB0_29 Depth=2
	s_or_b32 exec_lo, exec_lo, s37
                                        ; implicit-def: $vgpr23
.LBB0_82:                               ;   in Loop: Header=BB0_29 Depth=2
	s_and_not1_saveexec_b32 s0, s36
	s_cbranch_execz .LBB0_27
; %bb.83:                               ;   in Loop: Header=BB0_29 Depth=2
	v_or_b32_e32 v4, 0x7f, v23
	s_branch .LBB0_27
.LBB0_84:                               ;   in Loop: Header=BB0_7 Depth=1
	s_or_b32 exec_lo, exec_lo, s25
	s_delay_alu instid0(VALU_DEP_2) | instskip(SKIP_1) | instid1(VALU_DEP_1)
	v_lshlrev_b32_e32 v2, 2, v26
	s_mov_b32 s25, exec_lo
	v_cmpx_lt_i32_e64 v2, v1
	s_cbranch_execz .LBB0_101
; %bb.85:                               ;   in Loop: Header=BB0_7 Depth=1
	v_lshlrev_b64_e32 v[4:5], 2, v[10:11]
	v_add_nc_u64_e32 v[18:19], v[16:17], v[12:13]
	v_ashrrev_i32_e32 v3, 31, v2
	s_mov_b32 s34, 0
	s_delay_alu instid0(VALU_DEP_3) | instskip(NEXT) | instid1(VALU_DEP_3)
	v_lshl_add_u64 v[4:5], v[16:17], 2, v[4:5]
	v_add_nc_u64_e32 v[14:15], v[18:19], v[14:15]
	s_delay_alu instid0(VALU_DEP_2) | instskip(NEXT) | instid1(VALU_DEP_2)
	v_lshl_add_u64 v[4:5], v[8:9], 2, v[4:5]
	v_add_nc_u64_e32 v[14:15], v[14:15], v[2:3]
	s_delay_alu instid0(VALU_DEP_2) | instskip(NEXT) | instid1(VALU_DEP_2)
	v_lshl_add_u64 v[4:5], v[2:3], 2, v[4:5]
	v_add_nc_u64_e32 v[14:15], s[16:17], v[14:15]
	s_delay_alu instid0(VALU_DEP_2)
	v_add_nc_u64_e32 v[4:5], s[12:13], v[4:5]
	s_branch .LBB0_88
.LBB0_86:                               ;   in Loop: Header=BB0_88 Depth=2
	s_or_b32 exec_lo, exec_lo, s0
.LBB0_87:                               ;   in Loop: Header=BB0_88 Depth=2
	s_delay_alu instid0(SALU_CYCLE_1)
	s_or_b32 exec_lo, exec_lo, s35
	v_add_nc_u32_e32 v2, 1, v2
	global_store_b8 v[14:15], v6, off
	v_add_nc_u64_e32 v[4:5], 4, v[4:5]
	s_wait_xcnt 0x0
	v_add_nc_u64_e32 v[14:15], 1, v[14:15]
	v_cmp_ge_i32_e32 vcc_lo, v2, v1
	s_or_b32 s34, vcc_lo, s34
	s_delay_alu instid0(SALU_CYCLE_1)
	s_and_not1_b32 exec_lo, exec_lo, s34
	s_cbranch_execz .LBB0_101
.LBB0_88:                               ;   Parent Loop BB0_7 Depth=1
                                        ; =>  This Inner Loop Header: Depth=2
	global_load_b32 v3, v[4:5], off
	s_wait_loadcnt 0x0
	v_div_scale_f32 v6, null, s10, s10, v3
	s_delay_alu instid0(VALU_DEP_1) | instskip(SKIP_1) | instid1(TRANS32_DEP_1)
	v_rcp_f32_e32 v16, v6
	v_nop
	v_fma_f32 v17, -v6, v16, 1.0
	s_delay_alu instid0(VALU_DEP_1) | instskip(SKIP_1) | instid1(VALU_DEP_1)
	v_fmac_f32_e32 v16, v17, v16
	v_div_scale_f32 v17, vcc_lo, v3, s10, v3
	v_mul_f32_e32 v18, v17, v16
	s_delay_alu instid0(VALU_DEP_1) | instskip(NEXT) | instid1(VALU_DEP_1)
	v_fma_f32 v19, -v6, v18, v17
	v_fmac_f32_e32 v18, v19, v16
	s_delay_alu instid0(VALU_DEP_1) | instskip(NEXT) | instid1(VALU_DEP_1)
	v_fma_f32 v6, -v6, v18, v17
	v_div_fmas_f32 v6, v6, v16, v18
	s_delay_alu instid0(VALU_DEP_1) | instskip(NEXT) | instid1(VALU_DEP_1)
	v_div_fixup_f32 v3, v6, s10, v3
	v_and_b32_e32 v6, 0x7f800000, v3
	s_delay_alu instid0(VALU_DEP_1)
	v_cmp_ne_u64_e32 vcc_lo, 0x7f800000, v[6:7]
	v_mov_b32_e32 v6, 0x80
	s_wait_xcnt 0x0
	s_and_saveexec_b32 s35, vcc_lo
	s_cbranch_execz .LBB0_87
; %bb.89:                               ;   in Loop: Header=BB0_88 Depth=2
	v_and_b32_e32 v6, 0x7fffffff, v3
	s_delay_alu instid0(VALU_DEP_1) | instskip(SKIP_1) | instid1(SALU_CYCLE_1)
	v_cmp_gt_u64_e32 vcc_lo, 0x43700001, v[6:7]
                                        ; implicit-def: $vgpr6
	s_and_saveexec_b32 s0, vcc_lo
	s_xor_b32 s36, exec_lo, s0
	s_cbranch_execz .LBB0_99
; %bb.90:                               ;   in Loop: Header=BB0_88 Depth=2
	v_mov_b32_e32 v6, 0
	s_mov_b32 s37, exec_lo
	v_cmpx_ne_u32_e32 0, v3
	s_cbranch_execz .LBB0_98
; %bb.91:                               ;   in Loop: Header=BB0_88 Depth=2
	v_bfe_u32 v20, v3, 23, 8
	s_delay_alu instid0(VALU_DEP_1) | instskip(SKIP_1) | instid1(VALU_DEP_2)
	v_sub_nc_u32_e32 v6, 0x78, v20
	v_cmp_gt_u32_e32 vcc_lo, 0x79, v20
	v_cndmask_b32_e32 v6, 0, v6, vcc_lo
	v_cmp_eq_u32_e32 vcc_lo, 0, v20
	s_delay_alu instid0(VALU_DEP_2) | instskip(SKIP_1) | instid1(VALU_DEP_2)
	v_cndmask_b32_e64 v21, v6, 0x77, vcc_lo
	v_and_b32_e32 v6, 0x7fffff, v3
	v_add_nc_u32_e32 v16, 20, v21
	s_delay_alu instid0(VALU_DEP_2) | instskip(SKIP_1) | instid1(VALU_DEP_3)
	v_or_b32_e32 v18, 0x800000, v6
	v_add_nc_u32_e32 v19, 19, v21
	v_lshlrev_b64_e64 v[16:17], v16, -1
	s_delay_alu instid0(VALU_DEP_3) | instskip(NEXT) | instid1(VALU_DEP_3)
	v_cndmask_b32_e32 v6, v18, v6, vcc_lo
	v_lshlrev_b64_e64 v[18:19], v19, 1
	s_delay_alu instid0(VALU_DEP_3) | instskip(NEXT) | instid1(VALU_DEP_3)
	v_bfi_b32 v23, v17, 0, 0
	v_bfi_b32 v22, v16, 0, v6
	v_lshrrev_b64 v[16:17], v21, v[6:7]
	s_delay_alu instid0(VALU_DEP_2) | instskip(NEXT) | instid1(VALU_DEP_2)
	v_cmp_eq_u64_e64 s0, v[22:23], v[18:19]
	v_mov_b64_e32 v[18:19], v[16:17]
	s_and_saveexec_b32 s38, s0
; %bb.92:                               ;   in Loop: Header=BB0_88 Depth=2
	v_bfe_u32 v6, v16, 20, 1
	s_delay_alu instid0(VALU_DEP_1) | instskip(NEXT) | instid1(VALU_DEP_1)
	v_add_nc_u64_e32 v[18:19], v[16:17], v[6:7]
	v_add_nc_u64_e32 v[18:19], -1, v[18:19]
; %bb.93:                               ;   in Loop: Header=BB0_88 Depth=2
	s_or_b32 exec_lo, exec_lo, s38
	v_add_nc_u32_e32 v6, 0xffffff81, v20
	v_lshrrev_b32_e32 v17, 23, v16
	s_mov_b32 s0, exec_lo
	s_delay_alu instid0(VALU_DEP_2) | instskip(NEXT) | instid1(VALU_DEP_1)
	v_cndmask_b32_e64 v6, v6, 0xffffff82, vcc_lo
	v_add3_u32 v19, v21, v6, v17
	v_and_b32_e32 v6, 0xfffff, v18
                                        ; implicit-def: $vgpr18
	s_delay_alu instid0(VALU_DEP_1) | instskip(NEXT) | instid1(VALU_DEP_1)
	v_dual_add_nc_u32 v20, 7, v19 :: v_dual_add_nc_u32 v6, v6, v16
                                        ; implicit-def: $vgpr16_vgpr17
	v_cmpx_ne_u32_e32 0, v20
	s_xor_b32 s0, exec_lo, s0
; %bb.94:                               ;   in Loop: Header=BB0_88 Depth=2
	s_delay_alu instid0(VALU_DEP_2) | instskip(SKIP_1) | instid1(VALU_DEP_1)
	v_cmp_lt_u64_e32 vcc_lo, 0xffffff, v[6:7]
	v_add_nc_u32_e32 v16, 8, v19
	v_cndmask_b32_e32 v18, v20, v16, vcc_lo
	v_cndmask_b32_e64 v16, 0, 1, vcc_lo
	s_delay_alu instid0(VALU_DEP_1)
	v_lshrrev_b64 v[16:17], v16, v[6:7]
; %bb.95:                               ;   in Loop: Header=BB0_88 Depth=2
	s_and_not1_saveexec_b32 s0, s0
; %bb.96:                               ;   in Loop: Header=BB0_88 Depth=2
	v_mov_b64_e32 v[16:17], v[6:7]
	v_bfe_u32 v18, v6, 23, 1
; %bb.97:                               ;   in Loop: Header=BB0_88 Depth=2
	s_or_b32 exec_lo, exec_lo, s0
	s_delay_alu instid0(VALU_DEP_2) | instskip(NEXT) | instid1(VALU_DEP_2)
	v_lshrrev_b64 v[16:17], 20, v[16:17]
	v_dual_lshrrev_b32 v3, 24, v3 :: v_dual_min_i32 v6, 15, v18
	v_cmp_gt_i32_e32 vcc_lo, 16, v18
	v_cmp_eq_u32_e64 s0, 0, v18
	s_delay_alu instid0(VALU_DEP_3) | instskip(SKIP_1) | instid1(VALU_DEP_2)
	v_and_b32_e32 v3, 0x80, v3
	v_dual_cndmask_b32 v17, 0, v17 :: v_dual_cndmask_b32 v16, 7, v16
	v_lshl_or_b32 v3, v6, 3, v3
	s_delay_alu instid0(VALU_DEP_2) | instskip(NEXT) | instid1(VALU_DEP_2)
	v_cmp_eq_u64_e32 vcc_lo, 0, v[16:17]
	v_and_or_b32 v3, v16, 7, v3
	s_and_b32 s0, s0, vcc_lo
	s_delay_alu instid0(VALU_DEP_1) | instid1(SALU_CYCLE_1)
	v_cndmask_b32_e64 v6, v3, 0, s0
.LBB0_98:                               ;   in Loop: Header=BB0_88 Depth=2
	s_or_b32 exec_lo, exec_lo, s37
                                        ; implicit-def: $vgpr3
.LBB0_99:                               ;   in Loop: Header=BB0_88 Depth=2
	s_and_not1_saveexec_b32 s0, s36
	s_cbranch_execz .LBB0_86
; %bb.100:                              ;   in Loop: Header=BB0_88 Depth=2
	v_lshrrev_b32_e32 v3, 24, v3
	s_delay_alu instid0(VALU_DEP_1)
	v_or_b32_e32 v6, 0x7f, v3
	s_branch .LBB0_86
.LBB0_101:                              ;   in Loop: Header=BB0_7 Depth=1
	s_or_b32 exec_lo, exec_lo, s25
                                        ; implicit-def: $vgpr14_vgpr15
.LBB0_102:                              ;   in Loop: Header=BB0_7 Depth=1
	s_and_not1_saveexec_b32 s24, s24
	s_cbranch_execz .LBB0_162
; %bb.103:                              ;   in Loop: Header=BB0_7 Depth=1
	s_and_not1_b32 vcc_lo, exec_lo, s26
	s_cbranch_vccnz .LBB0_162
; %bb.104:                              ;   in Loop: Header=BB0_7 Depth=1
	v_lshlrev_b64_e32 v[2:3], 2, v[8:9]
	v_add_nc_u64_e32 v[4:5], v[12:13], v[14:15]
	s_mov_b32 s25, s31
	s_delay_alu instid0(VALU_DEP_2) | instskip(NEXT) | instid1(VALU_DEP_2)
	v_lshl_add_u64 v[2:3], v[10:11], 2, v[2:3]
	v_add_nc_u64_e32 v[14:15], s[16:17], v[4:5]
	s_delay_alu instid0(VALU_DEP_2)
	v_add_nc_u64_e32 v[16:17], s[22:23], v[2:3]
	s_branch .LBB0_107
.LBB0_105:                              ;   in Loop: Header=BB0_107 Depth=2
	s_or_b32 exec_lo, exec_lo, s0
.LBB0_106:                              ;   in Loop: Header=BB0_107 Depth=2
	s_delay_alu instid0(SALU_CYCLE_1) | instskip(NEXT) | instid1(VALU_DEP_1)
	s_or_b32 exec_lo, exec_lo, s34
	v_dual_lshlrev_b32 v2, 24, v4 :: v_dual_lshlrev_b32 v3, 16, v18
	v_lshl_or_b32 v1, v1, 8, v20
	v_add_nc_u64_e32 v[16:17], 16, v[16:17]
	s_add_co_i32 s25, s25, -1
	s_delay_alu instid0(SALU_CYCLE_1) | instskip(NEXT) | instid1(VALU_DEP_2)
	s_cmp_eq_u32 s25, 0
	v_or3_b32 v1, v1, v3, v2
	global_store_b32 v[14:15], v1, off
	s_wait_xcnt 0x0
	v_add_nc_u64_e32 v[14:15], 4, v[14:15]
	s_cbranch_scc1 .LBB0_162
.LBB0_107:                              ;   Parent Loop BB0_7 Depth=1
                                        ; =>  This Inner Loop Header: Depth=2
	global_load_b128 v[2:5], v[16:17], off offset:-8
	s_mov_b32 s34, exec_lo
	s_wait_loadcnt 0x0
	v_div_scale_f32 v1, null, s10, s10, v2
	s_delay_alu instid0(VALU_DEP_1) | instskip(SKIP_1) | instid1(TRANS32_DEP_1)
	v_rcp_f32_e32 v6, v1
	v_nop
	v_fma_f32 v18, -v1, v6, 1.0
	s_delay_alu instid0(VALU_DEP_1) | instskip(SKIP_1) | instid1(VALU_DEP_1)
	v_fmac_f32_e32 v6, v18, v6
	v_div_scale_f32 v18, vcc_lo, v2, s10, v2
	v_mul_f32_e32 v19, v18, v6
	s_delay_alu instid0(VALU_DEP_1) | instskip(NEXT) | instid1(VALU_DEP_1)
	v_fma_f32 v20, -v1, v19, v18
	v_dual_fmac_f32 v19, v20, v6 :: v_dual_mov_b32 v20, 0x80
	s_delay_alu instid0(VALU_DEP_1) | instskip(NEXT) | instid1(VALU_DEP_1)
	v_fma_f32 v1, -v1, v19, v18
	v_div_fmas_f32 v1, v1, v6, v19
	s_delay_alu instid0(VALU_DEP_1) | instskip(SKIP_1) | instid1(VALU_DEP_2)
	v_div_fixup_f32 v18, v1, s10, v2
	v_mov_b32_e32 v1, 0x80
	v_and_b32_e32 v6, 0x7f800000, v18
	s_wait_xcnt 0x0
	s_delay_alu instid0(VALU_DEP_1)
	v_cmpx_ne_u64_e32 0x7f800000, v[6:7]
	s_cbranch_execz .LBB0_121
; %bb.108:                              ;   in Loop: Header=BB0_107 Depth=2
	v_and_b32_e32 v6, 0x7fffffff, v18
	v_lshrrev_b32_e32 v2, 24, v18
                                        ; implicit-def: $vgpr20
	s_mov_b32 s0, exec_lo
	s_delay_alu instid0(VALU_DEP_2)
	v_cmpx_gt_u64_e32 0x43700001, v[6:7]
	s_xor_b32 s35, exec_lo, s0
	s_cbranch_execz .LBB0_118
; %bb.109:                              ;   in Loop: Header=BB0_107 Depth=2
	v_mov_b32_e32 v20, 0
	s_mov_b32 s36, exec_lo
	v_cmpx_ne_u32_e32 0, v18
	s_cbranch_execz .LBB0_117
; %bb.110:                              ;   in Loop: Header=BB0_107 Depth=2
	v_bfe_u32 v22, v18, 23, 8
	s_delay_alu instid0(VALU_DEP_1) | instskip(SKIP_1) | instid1(VALU_DEP_2)
	v_sub_nc_u32_e32 v6, 0x78, v22
	v_cmp_gt_u32_e32 vcc_lo, 0x79, v22
	v_cndmask_b32_e32 v6, 0, v6, vcc_lo
	v_cmp_eq_u32_e32 vcc_lo, 0, v22
	s_delay_alu instid0(VALU_DEP_2) | instskip(SKIP_1) | instid1(VALU_DEP_2)
	v_cndmask_b32_e64 v23, v6, 0x77, vcc_lo
	v_and_b32_e32 v6, 0x7fffff, v18
	v_add_nc_u32_e32 v18, 20, v23
	s_delay_alu instid0(VALU_DEP_2) | instskip(SKIP_1) | instid1(VALU_DEP_3)
	v_or_b32_e32 v20, 0x800000, v6
	v_add_nc_u32_e32 v21, 19, v23
	v_lshlrev_b64_e64 v[18:19], v18, -1
	s_delay_alu instid0(VALU_DEP_3) | instskip(NEXT) | instid1(VALU_DEP_3)
	v_cndmask_b32_e32 v6, v20, v6, vcc_lo
	v_lshlrev_b64_e64 v[20:21], v21, 1
	s_delay_alu instid0(VALU_DEP_3) | instskip(NEXT) | instid1(VALU_DEP_3)
	v_bfi_b32 v25, v19, 0, 0
	v_bfi_b32 v24, v18, 0, v6
	v_lshrrev_b64 v[18:19], v23, v[6:7]
	s_delay_alu instid0(VALU_DEP_2) | instskip(NEXT) | instid1(VALU_DEP_2)
	v_cmp_eq_u64_e64 s0, v[24:25], v[20:21]
	v_mov_b64_e32 v[20:21], v[18:19]
	s_and_saveexec_b32 s37, s0
; %bb.111:                              ;   in Loop: Header=BB0_107 Depth=2
	v_bfe_u32 v6, v18, 20, 1
	s_delay_alu instid0(VALU_DEP_1) | instskip(NEXT) | instid1(VALU_DEP_1)
	v_add_nc_u64_e32 v[20:21], v[18:19], v[6:7]
	v_add_nc_u64_e32 v[20:21], -1, v[20:21]
; %bb.112:                              ;   in Loop: Header=BB0_107 Depth=2
	s_or_b32 exec_lo, exec_lo, s37
	v_add_nc_u32_e32 v6, 0xffffff81, v22
	v_lshrrev_b32_e32 v19, 23, v18
	s_mov_b32 s0, exec_lo
	s_delay_alu instid0(VALU_DEP_2) | instskip(NEXT) | instid1(VALU_DEP_1)
	v_cndmask_b32_e64 v6, v6, 0xffffff82, vcc_lo
	v_add3_u32 v21, v23, v6, v19
	v_and_b32_e32 v6, 0xfffff, v20
                                        ; implicit-def: $vgpr20
	s_delay_alu instid0(VALU_DEP_1) | instskip(NEXT) | instid1(VALU_DEP_1)
	v_dual_add_nc_u32 v22, 7, v21 :: v_dual_add_nc_u32 v6, v6, v18
                                        ; implicit-def: $vgpr18_vgpr19
	v_cmpx_ne_u32_e32 0, v22
	s_xor_b32 s0, exec_lo, s0
; %bb.113:                              ;   in Loop: Header=BB0_107 Depth=2
	s_delay_alu instid0(VALU_DEP_2) | instskip(SKIP_1) | instid1(VALU_DEP_1)
	v_cmp_lt_u64_e32 vcc_lo, 0xffffff, v[6:7]
	v_add_nc_u32_e32 v18, 8, v21
	v_cndmask_b32_e32 v20, v22, v18, vcc_lo
	v_cndmask_b32_e64 v18, 0, 1, vcc_lo
	s_delay_alu instid0(VALU_DEP_1)
	v_lshrrev_b64 v[18:19], v18, v[6:7]
; %bb.114:                              ;   in Loop: Header=BB0_107 Depth=2
	s_and_not1_saveexec_b32 s0, s0
; %bb.115:                              ;   in Loop: Header=BB0_107 Depth=2
	v_mov_b64_e32 v[18:19], v[6:7]
	v_bfe_u32 v20, v6, 23, 1
; %bb.116:                              ;   in Loop: Header=BB0_107 Depth=2
	s_or_b32 exec_lo, exec_lo, s0
	s_delay_alu instid0(VALU_DEP_2) | instskip(NEXT) | instid1(VALU_DEP_2)
	v_lshrrev_b64 v[18:19], 20, v[18:19]
	v_cmp_gt_i32_e32 vcc_lo, 16, v20
	v_min_i32_e32 v6, 15, v20
	v_and_b32_e32 v2, 0x80, v2
	v_cmp_eq_u32_e64 s0, 0, v20
	v_dual_cndmask_b32 v19, 0, v19 :: v_dual_cndmask_b32 v18, 7, v18
	s_delay_alu instid0(VALU_DEP_4) | instskip(NEXT) | instid1(VALU_DEP_2)
	v_lshlrev_b32_e32 v6, 3, v6
	v_and_b32_e32 v21, 7, v18
	s_delay_alu instid0(VALU_DEP_2) | instskip(NEXT) | instid1(VALU_DEP_4)
	v_and_b32_e32 v6, 0xf8, v6
	v_cmp_eq_u64_e32 vcc_lo, 0, v[18:19]
	s_delay_alu instid0(VALU_DEP_2)
	v_or3_b32 v2, v6, v2, v21
	s_and_b32 s0, s0, vcc_lo
	s_delay_alu instid0(VALU_DEP_1) | instid1(SALU_CYCLE_1)
	v_cndmask_b32_e64 v20, v2, 0, s0
.LBB0_117:                              ;   in Loop: Header=BB0_107 Depth=2
	s_or_b32 exec_lo, exec_lo, s36
                                        ; implicit-def: $vgpr2
.LBB0_118:                              ;   in Loop: Header=BB0_107 Depth=2
	s_and_not1_saveexec_b32 s0, s35
; %bb.119:                              ;   in Loop: Header=BB0_107 Depth=2
	v_or_b32_e32 v20, 0x7f, v2
; %bb.120:                              ;   in Loop: Header=BB0_107 Depth=2
	s_or_b32 exec_lo, exec_lo, s0
.LBB0_121:                              ;   in Loop: Header=BB0_107 Depth=2
	s_delay_alu instid0(SALU_CYCLE_1) | instskip(SKIP_4) | instid1(TRANS32_DEP_1)
	s_or_b32 exec_lo, exec_lo, s34
	v_div_scale_f32 v2, null, s10, s10, v3
	s_mov_b32 s34, exec_lo
	v_rcp_f32_e32 v6, v2
	v_nop
	v_fma_f32 v18, -v2, v6, 1.0
	s_delay_alu instid0(VALU_DEP_1) | instskip(SKIP_1) | instid1(VALU_DEP_1)
	v_fmac_f32_e32 v6, v18, v6
	v_div_scale_f32 v18, vcc_lo, v3, s10, v3
	v_mul_f32_e32 v19, v18, v6
	s_delay_alu instid0(VALU_DEP_1) | instskip(NEXT) | instid1(VALU_DEP_1)
	v_fma_f32 v21, -v2, v19, v18
	v_fmac_f32_e32 v19, v21, v6
	s_delay_alu instid0(VALU_DEP_1) | instskip(NEXT) | instid1(VALU_DEP_1)
	v_fma_f32 v2, -v2, v19, v18
	v_div_fmas_f32 v2, v2, v6, v19
	s_delay_alu instid0(VALU_DEP_1) | instskip(NEXT) | instid1(VALU_DEP_1)
	v_div_fixup_f32 v2, v2, s10, v3
	v_and_b32_e32 v6, 0x7f800000, v2
	s_delay_alu instid0(VALU_DEP_1)
	v_cmpx_ne_u64_e32 0x7f800000, v[6:7]
	s_cbranch_execz .LBB0_135
; %bb.122:                              ;   in Loop: Header=BB0_107 Depth=2
	v_and_b32_e32 v6, 0x7fffffff, v2
	v_lshrrev_b32_e32 v21, 24, v2
                                        ; implicit-def: $vgpr1
	s_mov_b32 s0, exec_lo
	s_delay_alu instid0(VALU_DEP_2)
	v_cmpx_gt_u64_e32 0x43700001, v[6:7]
	s_xor_b32 s35, exec_lo, s0
	s_cbranch_execz .LBB0_132
; %bb.123:                              ;   in Loop: Header=BB0_107 Depth=2
	v_mov_b32_e32 v1, 0
	s_mov_b32 s36, exec_lo
	v_cmpx_ne_u32_e32 0, v2
	s_cbranch_execz .LBB0_131
; %bb.124:                              ;   in Loop: Header=BB0_107 Depth=2
	v_bfe_u32 v1, v2, 23, 8
	v_and_b32_e32 v6, 0x7fffff, v2
	s_delay_alu instid0(VALU_DEP_2) | instskip(NEXT) | instid1(VALU_DEP_2)
	v_cmp_gt_u32_e32 vcc_lo, 0x79, v1
	v_or_b32_e32 v18, 0x800000, v6
	v_sub_nc_u32_e32 v3, 0x78, v1
	s_delay_alu instid0(VALU_DEP_1) | instskip(SKIP_1) | instid1(VALU_DEP_2)
	v_cndmask_b32_e32 v3, 0, v3, vcc_lo
	v_cmp_eq_u32_e32 vcc_lo, 0, v1
	v_cndmask_b32_e64 v22, v3, 0x77, vcc_lo
	v_cndmask_b32_e32 v6, v18, v6, vcc_lo
	s_delay_alu instid0(VALU_DEP_2) | instskip(NEXT) | instid1(VALU_DEP_1)
	v_dual_add_nc_u32 v2, 20, v22 :: v_dual_add_nc_u32 v19, 19, v22
	v_lshlrev_b64_e64 v[2:3], v2, -1
	s_delay_alu instid0(VALU_DEP_2) | instskip(NEXT) | instid1(VALU_DEP_2)
	v_lshlrev_b64_e64 v[18:19], v19, 1
	v_bfi_b32 v25, v3, 0, 0
	s_delay_alu instid0(VALU_DEP_3) | instskip(SKIP_1) | instid1(VALU_DEP_2)
	v_bfi_b32 v24, v2, 0, v6
	v_lshrrev_b64 v[2:3], v22, v[6:7]
	v_cmp_eq_u64_e64 s0, v[24:25], v[18:19]
	s_delay_alu instid0(VALU_DEP_2)
	v_mov_b64_e32 v[18:19], v[2:3]
	s_and_saveexec_b32 s37, s0
; %bb.125:                              ;   in Loop: Header=BB0_107 Depth=2
	v_bfe_u32 v6, v2, 20, 1
	s_delay_alu instid0(VALU_DEP_1) | instskip(NEXT) | instid1(VALU_DEP_1)
	v_add_nc_u64_e32 v[18:19], v[2:3], v[6:7]
	v_add_nc_u64_e32 v[18:19], -1, v[18:19]
; %bb.126:                              ;   in Loop: Header=BB0_107 Depth=2
	s_or_b32 exec_lo, exec_lo, s37
	v_add_nc_u32_e32 v1, 0xffffff81, v1
	v_lshrrev_b32_e32 v3, 23, v2
	s_mov_b32 s0, exec_lo
	s_delay_alu instid0(VALU_DEP_2) | instskip(NEXT) | instid1(VALU_DEP_1)
	v_cndmask_b32_e64 v1, v1, 0xffffff82, vcc_lo
	v_add3_u32 v19, v22, v1, v3
	v_and_b32_e32 v1, 0xfffff, v18
	s_delay_alu instid0(VALU_DEP_1) | instskip(NEXT) | instid1(VALU_DEP_1)
	v_dual_add_nc_u32 v18, 7, v19 :: v_dual_add_nc_u32 v6, v1, v2
                                        ; implicit-def: $vgpr2_vgpr3
                                        ; implicit-def: $vgpr1
	v_cmpx_ne_u32_e32 0, v18
	s_xor_b32 s0, exec_lo, s0
; %bb.127:                              ;   in Loop: Header=BB0_107 Depth=2
	s_delay_alu instid0(VALU_DEP_2) | instskip(SKIP_2) | instid1(VALU_DEP_2)
	v_cmp_lt_u64_e32 vcc_lo, 0xffffff, v[6:7]
	v_add_nc_u32_e32 v1, 8, v19
	v_cndmask_b32_e64 v2, 0, 1, vcc_lo
	v_cndmask_b32_e32 v1, v18, v1, vcc_lo
	s_delay_alu instid0(VALU_DEP_2)
	v_lshrrev_b64 v[2:3], v2, v[6:7]
; %bb.128:                              ;   in Loop: Header=BB0_107 Depth=2
	s_and_not1_saveexec_b32 s0, s0
; %bb.129:                              ;   in Loop: Header=BB0_107 Depth=2
	v_mov_b64_e32 v[2:3], v[6:7]
	v_bfe_u32 v1, v6, 23, 1
; %bb.130:                              ;   in Loop: Header=BB0_107 Depth=2
	s_or_b32 exec_lo, exec_lo, s0
	s_delay_alu instid0(VALU_DEP_2) | instskip(NEXT) | instid1(VALU_DEP_2)
	v_lshrrev_b64 v[2:3], 20, v[2:3]
	v_cmp_gt_i32_e32 vcc_lo, 16, v1
	v_min_i32_e32 v6, 15, v1
	v_and_b32_e32 v18, 0x80, v21
	v_cmp_eq_u32_e64 s0, 0, v1
	v_dual_cndmask_b32 v3, 0, v3 :: v_dual_cndmask_b32 v2, 7, v2
	s_delay_alu instid0(VALU_DEP_4) | instskip(NEXT) | instid1(VALU_DEP_2)
	v_lshlrev_b32_e32 v6, 3, v6
	v_and_b32_e32 v19, 7, v2
	s_delay_alu instid0(VALU_DEP_2) | instskip(NEXT) | instid1(VALU_DEP_4)
	v_and_b32_e32 v6, 0xf8, v6
	v_cmp_eq_u64_e32 vcc_lo, 0, v[2:3]
	s_delay_alu instid0(VALU_DEP_2)
	v_or3_b32 v1, v6, v18, v19
	s_and_b32 s0, s0, vcc_lo
	s_delay_alu instid0(VALU_DEP_1) | instid1(SALU_CYCLE_1)
	v_cndmask_b32_e64 v1, v1, 0, s0
.LBB0_131:                              ;   in Loop: Header=BB0_107 Depth=2
	s_or_b32 exec_lo, exec_lo, s36
                                        ; implicit-def: $vgpr21
.LBB0_132:                              ;   in Loop: Header=BB0_107 Depth=2
	s_and_not1_saveexec_b32 s0, s35
; %bb.133:                              ;   in Loop: Header=BB0_107 Depth=2
	v_or_b32_e32 v1, 0x7f, v21
; %bb.134:                              ;   in Loop: Header=BB0_107 Depth=2
	s_or_b32 exec_lo, exec_lo, s0
.LBB0_135:                              ;   in Loop: Header=BB0_107 Depth=2
	s_delay_alu instid0(SALU_CYCLE_1) | instskip(SKIP_4) | instid1(TRANS32_DEP_1)
	s_or_b32 exec_lo, exec_lo, s34
	v_div_scale_f32 v2, null, s10, s10, v4
	s_mov_b32 s34, exec_lo
	v_rcp_f32_e32 v3, v2
	v_nop
	v_fma_f32 v6, -v2, v3, 1.0
	s_delay_alu instid0(VALU_DEP_1) | instskip(SKIP_1) | instid1(VALU_DEP_1)
	v_fmac_f32_e32 v3, v6, v3
	v_div_scale_f32 v6, vcc_lo, v4, s10, v4
	v_mul_f32_e32 v18, v6, v3
	s_delay_alu instid0(VALU_DEP_1) | instskip(NEXT) | instid1(VALU_DEP_1)
	v_fma_f32 v19, -v2, v18, v6
	v_fmac_f32_e32 v18, v19, v3
	s_delay_alu instid0(VALU_DEP_1) | instskip(NEXT) | instid1(VALU_DEP_1)
	v_fma_f32 v2, -v2, v18, v6
	v_div_fmas_f32 v2, v2, v3, v18
	v_mov_b32_e32 v18, 0x80
	s_delay_alu instid0(VALU_DEP_2) | instskip(SKIP_1) | instid1(VALU_DEP_2)
	v_div_fixup_f32 v2, v2, s10, v4
	v_mov_b32_e32 v4, 0x80
	v_and_b32_e32 v6, 0x7f800000, v2
	s_delay_alu instid0(VALU_DEP_1)
	v_cmpx_ne_u64_e32 0x7f800000, v[6:7]
	s_cbranch_execz .LBB0_149
; %bb.136:                              ;   in Loop: Header=BB0_107 Depth=2
	v_and_b32_e32 v6, 0x7fffffff, v2
	v_lshrrev_b32_e32 v21, 24, v2
                                        ; implicit-def: $vgpr18
	s_mov_b32 s0, exec_lo
	s_delay_alu instid0(VALU_DEP_2)
	v_cmpx_gt_u64_e32 0x43700001, v[6:7]
	s_xor_b32 s35, exec_lo, s0
	s_cbranch_execz .LBB0_146
; %bb.137:                              ;   in Loop: Header=BB0_107 Depth=2
	v_mov_b32_e32 v18, 0
	s_mov_b32 s36, exec_lo
	v_cmpx_ne_u32_e32 0, v2
	s_cbranch_execz .LBB0_145
; %bb.138:                              ;   in Loop: Header=BB0_107 Depth=2
	v_bfe_u32 v22, v2, 23, 8
	v_and_b32_e32 v6, 0x7fffff, v2
	s_delay_alu instid0(VALU_DEP_2) | instskip(SKIP_1) | instid1(VALU_DEP_3)
	v_sub_nc_u32_e32 v3, 0x78, v22
	v_cmp_gt_u32_e32 vcc_lo, 0x79, v22
	v_or_b32_e32 v18, 0x800000, v6
	s_delay_alu instid0(VALU_DEP_3) | instskip(SKIP_1) | instid1(VALU_DEP_3)
	v_cndmask_b32_e32 v3, 0, v3, vcc_lo
	v_cmp_eq_u32_e32 vcc_lo, 0, v22
	v_cndmask_b32_e32 v6, v18, v6, vcc_lo
	s_delay_alu instid0(VALU_DEP_3) | instskip(NEXT) | instid1(VALU_DEP_1)
	v_cndmask_b32_e64 v23, v3, 0x77, vcc_lo
	v_dual_add_nc_u32 v2, 20, v23 :: v_dual_add_nc_u32 v19, 19, v23
	s_delay_alu instid0(VALU_DEP_1) | instskip(NEXT) | instid1(VALU_DEP_2)
	v_lshlrev_b64_e64 v[2:3], v2, -1
	v_lshlrev_b64_e64 v[18:19], v19, 1
	s_delay_alu instid0(VALU_DEP_2) | instskip(NEXT) | instid1(VALU_DEP_3)
	v_bfi_b32 v25, v3, 0, 0
	v_bfi_b32 v24, v2, 0, v6
	v_lshrrev_b64 v[2:3], v23, v[6:7]
	s_delay_alu instid0(VALU_DEP_2) | instskip(NEXT) | instid1(VALU_DEP_2)
	v_cmp_eq_u64_e64 s0, v[24:25], v[18:19]
	v_mov_b64_e32 v[18:19], v[2:3]
	s_and_saveexec_b32 s37, s0
; %bb.139:                              ;   in Loop: Header=BB0_107 Depth=2
	v_bfe_u32 v6, v2, 20, 1
	s_delay_alu instid0(VALU_DEP_1) | instskip(NEXT) | instid1(VALU_DEP_1)
	v_add_nc_u64_e32 v[18:19], v[2:3], v[6:7]
	v_add_nc_u64_e32 v[18:19], -1, v[18:19]
; %bb.140:                              ;   in Loop: Header=BB0_107 Depth=2
	s_or_b32 exec_lo, exec_lo, s37
	v_add_nc_u32_e32 v3, 0xffffff81, v22
	v_lshrrev_b32_e32 v6, 23, v2
	s_mov_b32 s0, exec_lo
	s_delay_alu instid0(VALU_DEP_2) | instskip(NEXT) | instid1(VALU_DEP_1)
	v_cndmask_b32_e64 v3, v3, 0xffffff82, vcc_lo
	v_add3_u32 v19, v23, v3, v6
	v_and_b32_e32 v3, 0xfffff, v18
                                        ; implicit-def: $vgpr18
	s_delay_alu instid0(VALU_DEP_1) | instskip(NEXT) | instid1(VALU_DEP_1)
	v_dual_add_nc_u32 v22, 7, v19 :: v_dual_add_nc_u32 v6, v3, v2
                                        ; implicit-def: $vgpr2_vgpr3
	v_cmpx_ne_u32_e32 0, v22
	s_xor_b32 s0, exec_lo, s0
; %bb.141:                              ;   in Loop: Header=BB0_107 Depth=2
	s_delay_alu instid0(VALU_DEP_2) | instskip(SKIP_1) | instid1(VALU_DEP_1)
	v_cmp_lt_u64_e32 vcc_lo, 0xffffff, v[6:7]
	v_add_nc_u32_e32 v2, 8, v19
	v_cndmask_b32_e32 v18, v22, v2, vcc_lo
	v_cndmask_b32_e64 v2, 0, 1, vcc_lo
	s_delay_alu instid0(VALU_DEP_1)
	v_lshrrev_b64 v[2:3], v2, v[6:7]
; %bb.142:                              ;   in Loop: Header=BB0_107 Depth=2
	s_and_not1_saveexec_b32 s0, s0
; %bb.143:                              ;   in Loop: Header=BB0_107 Depth=2
	v_mov_b64_e32 v[2:3], v[6:7]
	v_bfe_u32 v18, v6, 23, 1
; %bb.144:                              ;   in Loop: Header=BB0_107 Depth=2
	s_or_b32 exec_lo, exec_lo, s0
	s_delay_alu instid0(VALU_DEP_2) | instskip(NEXT) | instid1(VALU_DEP_2)
	v_lshrrev_b64 v[2:3], 20, v[2:3]
	v_cmp_gt_i32_e32 vcc_lo, 16, v18
	v_min_i32_e32 v6, 15, v18
	v_and_b32_e32 v19, 0x80, v21
	v_cmp_eq_u32_e64 s0, 0, v18
	v_dual_cndmask_b32 v3, 0, v3 :: v_dual_cndmask_b32 v2, 7, v2
	s_delay_alu instid0(VALU_DEP_4) | instskip(NEXT) | instid1(VALU_DEP_2)
	v_lshlrev_b32_e32 v6, 3, v6
	v_and_b32_e32 v21, 7, v2
	s_delay_alu instid0(VALU_DEP_2) | instskip(NEXT) | instid1(VALU_DEP_4)
	v_and_b32_e32 v6, 0xf8, v6
	v_cmp_eq_u64_e32 vcc_lo, 0, v[2:3]
	s_delay_alu instid0(VALU_DEP_2)
	v_or3_b32 v2, v6, v19, v21
	s_and_b32 s0, s0, vcc_lo
	s_delay_alu instid0(VALU_DEP_1) | instid1(SALU_CYCLE_1)
	v_cndmask_b32_e64 v18, v2, 0, s0
.LBB0_145:                              ;   in Loop: Header=BB0_107 Depth=2
	s_or_b32 exec_lo, exec_lo, s36
                                        ; implicit-def: $vgpr21
.LBB0_146:                              ;   in Loop: Header=BB0_107 Depth=2
	s_and_not1_saveexec_b32 s0, s35
; %bb.147:                              ;   in Loop: Header=BB0_107 Depth=2
	v_or_b32_e32 v18, 0x7f, v21
; %bb.148:                              ;   in Loop: Header=BB0_107 Depth=2
	s_or_b32 exec_lo, exec_lo, s0
.LBB0_149:                              ;   in Loop: Header=BB0_107 Depth=2
	s_delay_alu instid0(SALU_CYCLE_1) | instskip(SKIP_4) | instid1(TRANS32_DEP_1)
	s_or_b32 exec_lo, exec_lo, s34
	v_div_scale_f32 v2, null, s10, s10, v5
	s_mov_b32 s34, exec_lo
	v_rcp_f32_e32 v3, v2
	v_nop
	v_fma_f32 v6, -v2, v3, 1.0
	s_delay_alu instid0(VALU_DEP_1) | instskip(SKIP_1) | instid1(VALU_DEP_1)
	v_fmac_f32_e32 v3, v6, v3
	v_div_scale_f32 v6, vcc_lo, v5, s10, v5
	v_mul_f32_e32 v19, v6, v3
	s_delay_alu instid0(VALU_DEP_1) | instskip(NEXT) | instid1(VALU_DEP_1)
	v_fma_f32 v21, -v2, v19, v6
	v_fmac_f32_e32 v19, v21, v3
	s_delay_alu instid0(VALU_DEP_1) | instskip(NEXT) | instid1(VALU_DEP_1)
	v_fma_f32 v2, -v2, v19, v6
	v_div_fmas_f32 v2, v2, v3, v19
	s_delay_alu instid0(VALU_DEP_1) | instskip(NEXT) | instid1(VALU_DEP_1)
	v_div_fixup_f32 v2, v2, s10, v5
	v_and_b32_e32 v6, 0x7f800000, v2
	s_delay_alu instid0(VALU_DEP_1)
	v_cmpx_ne_u64_e32 0x7f800000, v[6:7]
	s_cbranch_execz .LBB0_106
; %bb.150:                              ;   in Loop: Header=BB0_107 Depth=2
	v_and_b32_e32 v6, 0x7fffffff, v2
	v_lshrrev_b32_e32 v19, 24, v2
                                        ; implicit-def: $vgpr4
	s_mov_b32 s0, exec_lo
	s_delay_alu instid0(VALU_DEP_2)
	v_cmpx_gt_u64_e32 0x43700001, v[6:7]
	s_xor_b32 s35, exec_lo, s0
	s_cbranch_execz .LBB0_160
; %bb.151:                              ;   in Loop: Header=BB0_107 Depth=2
	v_mov_b32_e32 v4, 0
	s_mov_b32 s36, exec_lo
	v_cmpx_ne_u32_e32 0, v2
	s_cbranch_execz .LBB0_159
; %bb.152:                              ;   in Loop: Header=BB0_107 Depth=2
	v_bfe_u32 v21, v2, 23, 8
	v_and_b32_e32 v4, 0x7fffff, v2
	s_delay_alu instid0(VALU_DEP_2) | instskip(NEXT) | instid1(VALU_DEP_2)
	v_cmp_gt_u32_e32 vcc_lo, 0x79, v21
	v_or_b32_e32 v5, 0x800000, v4
	v_sub_nc_u32_e32 v3, 0x78, v21
	s_delay_alu instid0(VALU_DEP_1) | instskip(SKIP_1) | instid1(VALU_DEP_2)
	v_cndmask_b32_e32 v3, 0, v3, vcc_lo
	v_cmp_eq_u32_e32 vcc_lo, 0, v21
	v_cndmask_b32_e64 v22, v3, 0x77, vcc_lo
	s_delay_alu instid0(VALU_DEP_1) | instskip(SKIP_1) | instid1(VALU_DEP_2)
	v_dual_cndmask_b32 v6, v5, v4, vcc_lo :: v_dual_add_nc_u32 v2, 20, v22
	v_add_nc_u32_e32 v23, 19, v22
	v_lshlrev_b64_e64 v[2:3], v2, -1
	s_delay_alu instid0(VALU_DEP_2) | instskip(NEXT) | instid1(VALU_DEP_2)
	v_lshlrev_b64_e64 v[4:5], v23, 1
	v_bfi_b32 v25, v3, 0, 0
	s_delay_alu instid0(VALU_DEP_3) | instskip(SKIP_1) | instid1(VALU_DEP_2)
	v_bfi_b32 v24, v2, 0, v6
	v_lshrrev_b64 v[2:3], v22, v[6:7]
	v_cmp_eq_u64_e64 s0, v[24:25], v[4:5]
	s_delay_alu instid0(VALU_DEP_2)
	v_mov_b64_e32 v[4:5], v[2:3]
	s_and_saveexec_b32 s37, s0
; %bb.153:                              ;   in Loop: Header=BB0_107 Depth=2
	v_bfe_u32 v6, v2, 20, 1
	s_delay_alu instid0(VALU_DEP_1) | instskip(NEXT) | instid1(VALU_DEP_1)
	v_add_nc_u64_e32 v[4:5], v[2:3], v[6:7]
	v_add_nc_u64_e32 v[4:5], -1, v[4:5]
; %bb.154:                              ;   in Loop: Header=BB0_107 Depth=2
	s_or_b32 exec_lo, exec_lo, s37
	v_add_nc_u32_e32 v3, 0xffffff81, v21
	v_lshrrev_b32_e32 v5, 23, v2
	s_mov_b32 s0, exec_lo
	s_delay_alu instid0(VALU_DEP_2) | instskip(NEXT) | instid1(VALU_DEP_1)
	v_cndmask_b32_e64 v3, v3, 0xffffff82, vcc_lo
	v_add3_u32 v5, v22, v3, v5
	v_and_b32_e32 v3, 0xfffff, v4
                                        ; implicit-def: $vgpr4
	s_delay_alu instid0(VALU_DEP_1) | instskip(NEXT) | instid1(VALU_DEP_1)
	v_dual_add_nc_u32 v21, 7, v5 :: v_dual_add_nc_u32 v6, v3, v2
                                        ; implicit-def: $vgpr2_vgpr3
	v_cmpx_ne_u32_e32 0, v21
	s_xor_b32 s0, exec_lo, s0
; %bb.155:                              ;   in Loop: Header=BB0_107 Depth=2
	s_delay_alu instid0(VALU_DEP_2) | instskip(SKIP_1) | instid1(VALU_DEP_1)
	v_cmp_lt_u64_e32 vcc_lo, 0xffffff, v[6:7]
	v_add_nc_u32_e32 v2, 8, v5
	v_cndmask_b32_e32 v4, v21, v2, vcc_lo
	v_cndmask_b32_e64 v2, 0, 1, vcc_lo
	s_delay_alu instid0(VALU_DEP_1)
	v_lshrrev_b64 v[2:3], v2, v[6:7]
; %bb.156:                              ;   in Loop: Header=BB0_107 Depth=2
	s_and_not1_saveexec_b32 s0, s0
; %bb.157:                              ;   in Loop: Header=BB0_107 Depth=2
	v_mov_b64_e32 v[2:3], v[6:7]
	v_bfe_u32 v4, v6, 23, 1
; %bb.158:                              ;   in Loop: Header=BB0_107 Depth=2
	s_or_b32 exec_lo, exec_lo, s0
	s_delay_alu instid0(VALU_DEP_2) | instskip(NEXT) | instid1(VALU_DEP_2)
	v_lshrrev_b64 v[2:3], 20, v[2:3]
	v_cmp_gt_i32_e32 vcc_lo, 16, v4
	v_min_i32_e32 v5, 15, v4
	v_and_b32_e32 v6, 0x80, v19
	v_cmp_eq_u32_e64 s0, 0, v4
	v_dual_cndmask_b32 v3, 0, v3 :: v_dual_cndmask_b32 v2, 7, v2
	s_delay_alu instid0(VALU_DEP_1) | instskip(NEXT) | instid1(VALU_DEP_1)
	v_dual_lshlrev_b32 v5, 3, v5 :: v_dual_bitop2_b32 v19, 7, v2 bitop3:0x40
	v_and_b32_e32 v5, 0xf8, v5
	s_delay_alu instid0(VALU_DEP_3) | instskip(NEXT) | instid1(VALU_DEP_2)
	v_cmp_eq_u64_e32 vcc_lo, 0, v[2:3]
	v_or3_b32 v2, v5, v6, v19
	s_and_b32 s0, s0, vcc_lo
	s_delay_alu instid0(VALU_DEP_1) | instid1(SALU_CYCLE_1)
	v_cndmask_b32_e64 v4, v2, 0, s0
.LBB0_159:                              ;   in Loop: Header=BB0_107 Depth=2
	s_or_b32 exec_lo, exec_lo, s36
                                        ; implicit-def: $vgpr19
.LBB0_160:                              ;   in Loop: Header=BB0_107 Depth=2
	s_and_not1_saveexec_b32 s0, s35
	s_cbranch_execz .LBB0_105
; %bb.161:                              ;   in Loop: Header=BB0_107 Depth=2
	v_or_b32_e32 v4, 0x7f, v19
	s_branch .LBB0_105
.LBB0_162:                              ;   in Loop: Header=BB0_7 Depth=1
	s_or_b32 exec_lo, exec_lo, s24
	s_delay_alu instid0(SALU_CYCLE_1)
	s_and_not1_b32 vcc_lo, exec_lo, s27
	s_cbranch_vccnz .LBB0_6
; %bb.163:                              ;   in Loop: Header=BB0_7 Depth=1
	v_mul_lo_u32 v2, v10, s8
	v_add_nc_u64_e32 v[4:5], s[18:19], v[12:13]
	s_mov_b32 s24, 0
	s_mov_b32 s34, s9
	s_delay_alu instid0(VALU_DEP_2) | instskip(NEXT) | instid1(VALU_DEP_1)
	v_ashrrev_i32_e32 v3, 31, v2
	v_add_nc_u64_e32 v[2:3], v[4:5], v[2:3]
	v_lshl_add_u64 v[4:5], v[8:9], 2, s[14:15]
	s_delay_alu instid0(VALU_DEP_1) | instskip(NEXT) | instid1(VALU_DEP_3)
	v_lshl_add_u64 v[4:5], v[10:11], 2, v[4:5]
	v_add_nc_u64_e32 v[2:3], s[4:5], v[2:3]
	s_branch .LBB0_166
.LBB0_164:                              ;   in Loop: Header=BB0_166 Depth=2
	s_or_b32 exec_lo, exec_lo, s0
.LBB0_165:                              ;   in Loop: Header=BB0_166 Depth=2
	s_delay_alu instid0(SALU_CYCLE_1)
	s_or_b32 exec_lo, exec_lo, s25
	s_ashr_i32 s25, s24, 31
	v_add_nc_u64_e32 v[4:5], 4, v[4:5]
	v_add_nc_u64_e32 v[8:9], s[24:25], v[2:3]
	s_add_co_i32 s34, s34, -1
	s_add_co_i32 s24, s24, s8
	s_cmp_eq_u32 s34, 0
	global_store_b8 v[8:9], v6, off
	s_cbranch_scc1 .LBB0_6
.LBB0_166:                              ;   Parent Loop BB0_7 Depth=1
                                        ; =>  This Inner Loop Header: Depth=2
	global_load_b32 v1, v[4:5], off
	s_wait_loadcnt 0x0
	s_wait_xcnt 0x1
	v_div_scale_f32 v6, null, s11, s11, v1
	s_delay_alu instid0(VALU_DEP_1) | instskip(SKIP_1) | instid1(TRANS32_DEP_1)
	v_rcp_f32_e32 v8, v6
	v_nop
	v_fma_f32 v9, -v6, v8, 1.0
	s_delay_alu instid0(VALU_DEP_1) | instskip(SKIP_1) | instid1(VALU_DEP_1)
	v_fmac_f32_e32 v8, v9, v8
	v_div_scale_f32 v9, vcc_lo, v1, s11, v1
	v_mul_f32_e32 v10, v9, v8
	s_delay_alu instid0(VALU_DEP_1) | instskip(NEXT) | instid1(VALU_DEP_1)
	v_fma_f32 v11, -v6, v10, v9
	v_fmac_f32_e32 v10, v11, v8
	s_delay_alu instid0(VALU_DEP_1) | instskip(NEXT) | instid1(VALU_DEP_1)
	v_fma_f32 v6, -v6, v10, v9
	v_div_fmas_f32 v6, v6, v8, v10
	s_delay_alu instid0(VALU_DEP_1) | instskip(NEXT) | instid1(VALU_DEP_1)
	v_div_fixup_f32 v1, v6, s11, v1
	v_and_b32_e32 v6, 0x7f800000, v1
	s_delay_alu instid0(VALU_DEP_1)
	v_cmp_ne_u64_e32 vcc_lo, 0x7f800000, v[6:7]
	v_mov_b32_e32 v6, 0x80
	s_wait_xcnt 0x0
	s_and_saveexec_b32 s25, vcc_lo
	s_cbranch_execz .LBB0_165
; %bb.167:                              ;   in Loop: Header=BB0_166 Depth=2
	v_and_b32_e32 v6, 0x7fffffff, v1
	s_delay_alu instid0(VALU_DEP_1) | instskip(SKIP_1) | instid1(SALU_CYCLE_1)
	v_cmp_gt_u64_e32 vcc_lo, 0x43700001, v[6:7]
                                        ; implicit-def: $vgpr6
	s_and_saveexec_b32 s0, vcc_lo
	s_xor_b32 s35, exec_lo, s0
	s_cbranch_execz .LBB0_177
; %bb.168:                              ;   in Loop: Header=BB0_166 Depth=2
	v_mov_b32_e32 v6, 0
	s_mov_b32 s36, exec_lo
	v_cmpx_ne_u32_e32 0, v1
	s_cbranch_execz .LBB0_176
; %bb.169:                              ;   in Loop: Header=BB0_166 Depth=2
	v_bfe_u32 v12, v1, 23, 8
	s_delay_alu instid0(VALU_DEP_1) | instskip(SKIP_1) | instid1(VALU_DEP_2)
	v_sub_nc_u32_e32 v6, 0x78, v12
	v_cmp_gt_u32_e32 vcc_lo, 0x79, v12
	v_cndmask_b32_e32 v6, 0, v6, vcc_lo
	v_cmp_eq_u32_e32 vcc_lo, 0, v12
	s_delay_alu instid0(VALU_DEP_2) | instskip(SKIP_1) | instid1(VALU_DEP_2)
	v_cndmask_b32_e64 v13, v6, 0x77, vcc_lo
	v_and_b32_e32 v6, 0x7fffff, v1
	v_add_nc_u32_e32 v8, 20, v13
	s_delay_alu instid0(VALU_DEP_2) | instskip(SKIP_1) | instid1(VALU_DEP_3)
	v_or_b32_e32 v10, 0x800000, v6
	v_add_nc_u32_e32 v11, 19, v13
	v_lshlrev_b64_e64 v[8:9], v8, -1
	s_delay_alu instid0(VALU_DEP_3) | instskip(NEXT) | instid1(VALU_DEP_3)
	v_cndmask_b32_e32 v6, v10, v6, vcc_lo
	v_lshlrev_b64_e64 v[10:11], v11, 1
	s_delay_alu instid0(VALU_DEP_3) | instskip(NEXT) | instid1(VALU_DEP_3)
	v_bfi_b32 v15, v9, 0, 0
	v_bfi_b32 v14, v8, 0, v6
	v_lshrrev_b64 v[8:9], v13, v[6:7]
	s_delay_alu instid0(VALU_DEP_2) | instskip(NEXT) | instid1(VALU_DEP_2)
	v_cmp_eq_u64_e64 s0, v[14:15], v[10:11]
	v_mov_b64_e32 v[10:11], v[8:9]
	s_and_saveexec_b32 s37, s0
; %bb.170:                              ;   in Loop: Header=BB0_166 Depth=2
	v_bfe_u32 v6, v8, 20, 1
	s_delay_alu instid0(VALU_DEP_1) | instskip(NEXT) | instid1(VALU_DEP_1)
	v_add_nc_u64_e32 v[10:11], v[8:9], v[6:7]
	v_add_nc_u64_e32 v[10:11], -1, v[10:11]
; %bb.171:                              ;   in Loop: Header=BB0_166 Depth=2
	s_or_b32 exec_lo, exec_lo, s37
	v_add_nc_u32_e32 v6, 0xffffff81, v12
	v_lshrrev_b32_e32 v9, 23, v8
	s_mov_b32 s0, exec_lo
	s_delay_alu instid0(VALU_DEP_2) | instskip(NEXT) | instid1(VALU_DEP_1)
	v_cndmask_b32_e64 v6, v6, 0xffffff82, vcc_lo
	v_add3_u32 v11, v13, v6, v9
	v_and_b32_e32 v6, 0xfffff, v10
                                        ; implicit-def: $vgpr10
	s_delay_alu instid0(VALU_DEP_1) | instskip(NEXT) | instid1(VALU_DEP_1)
	v_dual_add_nc_u32 v12, 7, v11 :: v_dual_add_nc_u32 v6, v6, v8
                                        ; implicit-def: $vgpr8_vgpr9
	v_cmpx_ne_u32_e32 0, v12
	s_xor_b32 s0, exec_lo, s0
; %bb.172:                              ;   in Loop: Header=BB0_166 Depth=2
	s_delay_alu instid0(VALU_DEP_2) | instskip(SKIP_1) | instid1(VALU_DEP_1)
	v_cmp_lt_u64_e32 vcc_lo, 0xffffff, v[6:7]
	v_add_nc_u32_e32 v8, 8, v11
	v_cndmask_b32_e32 v10, v12, v8, vcc_lo
	v_cndmask_b32_e64 v8, 0, 1, vcc_lo
	s_delay_alu instid0(VALU_DEP_1)
	v_lshrrev_b64 v[8:9], v8, v[6:7]
; %bb.173:                              ;   in Loop: Header=BB0_166 Depth=2
	s_and_not1_saveexec_b32 s0, s0
; %bb.174:                              ;   in Loop: Header=BB0_166 Depth=2
	v_mov_b64_e32 v[8:9], v[6:7]
	v_bfe_u32 v10, v6, 23, 1
; %bb.175:                              ;   in Loop: Header=BB0_166 Depth=2
	s_or_b32 exec_lo, exec_lo, s0
	s_delay_alu instid0(VALU_DEP_2) | instskip(NEXT) | instid1(VALU_DEP_2)
	v_lshrrev_b64 v[8:9], 20, v[8:9]
	v_dual_lshrrev_b32 v1, 24, v1 :: v_dual_min_i32 v6, 15, v10
	v_cmp_gt_i32_e32 vcc_lo, 16, v10
	v_cmp_eq_u32_e64 s0, 0, v10
	s_delay_alu instid0(VALU_DEP_3) | instskip(SKIP_1) | instid1(VALU_DEP_2)
	v_and_b32_e32 v1, 0x80, v1
	v_dual_cndmask_b32 v9, 0, v9 :: v_dual_cndmask_b32 v8, 7, v8
	v_lshl_or_b32 v1, v6, 3, v1
	s_delay_alu instid0(VALU_DEP_2) | instskip(NEXT) | instid1(VALU_DEP_2)
	v_cmp_eq_u64_e32 vcc_lo, 0, v[8:9]
	v_and_or_b32 v1, v8, 7, v1
	s_and_b32 s0, s0, vcc_lo
	s_delay_alu instid0(VALU_DEP_1) | instid1(SALU_CYCLE_1)
	v_cndmask_b32_e64 v6, v1, 0, s0
.LBB0_176:                              ;   in Loop: Header=BB0_166 Depth=2
	s_or_b32 exec_lo, exec_lo, s36
                                        ; implicit-def: $vgpr1
.LBB0_177:                              ;   in Loop: Header=BB0_166 Depth=2
	s_and_not1_saveexec_b32 s0, s35
	s_cbranch_execz .LBB0_164
; %bb.178:                              ;   in Loop: Header=BB0_166 Depth=2
	v_lshrrev_b32_e32 v1, 24, v1
	s_delay_alu instid0(VALU_DEP_1)
	v_or_b32_e32 v6, 0x7f, v1
	s_branch .LBB0_164
.LBB0_179:
	s_endpgm
.LBB0_180:
                                        ; implicit-def: $sgpr28_sgpr29
	s_branch .LBB0_3
	.section	.rodata,"a",@progbits
	.p2align	6, 0x0
	.amdhsa_kernel _Z24reshape_and_cache_kernelIfhL18Fp8KVCacheDataType1EEvPKT_S3_PT0_S5_PKliiiiiiff
		.amdhsa_group_segment_fixed_size 0
		.amdhsa_private_segment_fixed_size 0
		.amdhsa_kernarg_size 328
		.amdhsa_user_sgpr_count 2
		.amdhsa_user_sgpr_dispatch_ptr 0
		.amdhsa_user_sgpr_queue_ptr 0
		.amdhsa_user_sgpr_kernarg_segment_ptr 1
		.amdhsa_user_sgpr_dispatch_id 0
		.amdhsa_user_sgpr_kernarg_preload_length 0
		.amdhsa_user_sgpr_kernarg_preload_offset 0
		.amdhsa_user_sgpr_private_segment_size 0
		.amdhsa_wavefront_size32 1
		.amdhsa_uses_dynamic_stack 0
		.amdhsa_enable_private_segment 0
		.amdhsa_system_sgpr_workgroup_id_x 1
		.amdhsa_system_sgpr_workgroup_id_y 0
		.amdhsa_system_sgpr_workgroup_id_z 0
		.amdhsa_system_sgpr_workgroup_info 0
		.amdhsa_system_vgpr_workitem_id 0
		.amdhsa_next_free_vgpr 34
		.amdhsa_next_free_sgpr 45
		.amdhsa_named_barrier_count 0
		.amdhsa_reserve_vcc 1
		.amdhsa_float_round_mode_32 0
		.amdhsa_float_round_mode_16_64 0
		.amdhsa_float_denorm_mode_32 3
		.amdhsa_float_denorm_mode_16_64 3
		.amdhsa_fp16_overflow 0
		.amdhsa_memory_ordered 1
		.amdhsa_forward_progress 1
		.amdhsa_inst_pref_size 71
		.amdhsa_round_robin_scheduling 0
		.amdhsa_exception_fp_ieee_invalid_op 0
		.amdhsa_exception_fp_denorm_src 0
		.amdhsa_exception_fp_ieee_div_zero 0
		.amdhsa_exception_fp_ieee_overflow 0
		.amdhsa_exception_fp_ieee_underflow 0
		.amdhsa_exception_fp_ieee_inexact 0
		.amdhsa_exception_int_div_zero 0
	.end_amdhsa_kernel
	.section	.text._Z24reshape_and_cache_kernelIfhL18Fp8KVCacheDataType1EEvPKT_S3_PT0_S5_PKliiiiiiff,"axG",@progbits,_Z24reshape_and_cache_kernelIfhL18Fp8KVCacheDataType1EEvPKT_S3_PT0_S5_PKliiiiiiff,comdat
.Lfunc_end0:
	.size	_Z24reshape_and_cache_kernelIfhL18Fp8KVCacheDataType1EEvPKT_S3_PT0_S5_PKliiiiiiff, .Lfunc_end0-_Z24reshape_and_cache_kernelIfhL18Fp8KVCacheDataType1EEvPKT_S3_PT0_S5_PKliiiiiiff
                                        ; -- End function
	.set _Z24reshape_and_cache_kernelIfhL18Fp8KVCacheDataType1EEvPKT_S3_PT0_S5_PKliiiiiiff.num_vgpr, 34
	.set _Z24reshape_and_cache_kernelIfhL18Fp8KVCacheDataType1EEvPKT_S3_PT0_S5_PKliiiiiiff.num_agpr, 0
	.set _Z24reshape_and_cache_kernelIfhL18Fp8KVCacheDataType1EEvPKT_S3_PT0_S5_PKliiiiiiff.numbered_sgpr, 45
	.set _Z24reshape_and_cache_kernelIfhL18Fp8KVCacheDataType1EEvPKT_S3_PT0_S5_PKliiiiiiff.num_named_barrier, 0
	.set _Z24reshape_and_cache_kernelIfhL18Fp8KVCacheDataType1EEvPKT_S3_PT0_S5_PKliiiiiiff.private_seg_size, 0
	.set _Z24reshape_and_cache_kernelIfhL18Fp8KVCacheDataType1EEvPKT_S3_PT0_S5_PKliiiiiiff.uses_vcc, 1
	.set _Z24reshape_and_cache_kernelIfhL18Fp8KVCacheDataType1EEvPKT_S3_PT0_S5_PKliiiiiiff.uses_flat_scratch, 0
	.set _Z24reshape_and_cache_kernelIfhL18Fp8KVCacheDataType1EEvPKT_S3_PT0_S5_PKliiiiiiff.has_dyn_sized_stack, 0
	.set _Z24reshape_and_cache_kernelIfhL18Fp8KVCacheDataType1EEvPKT_S3_PT0_S5_PKliiiiiiff.has_recursion, 0
	.set _Z24reshape_and_cache_kernelIfhL18Fp8KVCacheDataType1EEvPKT_S3_PT0_S5_PKliiiiiiff.has_indirect_call, 0
	.section	.AMDGPU.csdata,"",@progbits
; Kernel info:
; codeLenInByte = 9080
; TotalNumSgprs: 47
; NumVgprs: 34
; ScratchSize: 0
; MemoryBound: 0
; FloatMode: 240
; IeeeMode: 1
; LDSByteSize: 0 bytes/workgroup (compile time only)
; SGPRBlocks: 0
; VGPRBlocks: 2
; NumSGPRsForWavesPerEU: 47
; NumVGPRsForWavesPerEU: 34
; NamedBarCnt: 0
; Occupancy: 16
; WaveLimiterHint : 1
; COMPUTE_PGM_RSRC2:SCRATCH_EN: 0
; COMPUTE_PGM_RSRC2:USER_SGPR: 2
; COMPUTE_PGM_RSRC2:TRAP_HANDLER: 0
; COMPUTE_PGM_RSRC2:TGID_X_EN: 1
; COMPUTE_PGM_RSRC2:TGID_Y_EN: 0
; COMPUTE_PGM_RSRC2:TGID_Z_EN: 0
; COMPUTE_PGM_RSRC2:TIDIG_COMP_CNT: 0
	.section	.text._Z24reshape_and_cache_kernelI14__hip_bfloat16hL18Fp8KVCacheDataType1EEvPKT_S4_PT0_S6_PKliiiiiiff,"axG",@progbits,_Z24reshape_and_cache_kernelI14__hip_bfloat16hL18Fp8KVCacheDataType1EEvPKT_S4_PT0_S6_PKliiiiiiff,comdat
	.protected	_Z24reshape_and_cache_kernelI14__hip_bfloat16hL18Fp8KVCacheDataType1EEvPKT_S4_PT0_S6_PKliiiiiiff ; -- Begin function _Z24reshape_and_cache_kernelI14__hip_bfloat16hL18Fp8KVCacheDataType1EEvPKT_S4_PT0_S6_PKliiiiiiff
	.globl	_Z24reshape_and_cache_kernelI14__hip_bfloat16hL18Fp8KVCacheDataType1EEvPKT_S4_PT0_S6_PKliiiiiiff
	.p2align	8
	.type	_Z24reshape_and_cache_kernelI14__hip_bfloat16hL18Fp8KVCacheDataType1EEvPKT_S4_PT0_S6_PKliiiiiiff,@function
_Z24reshape_and_cache_kernelI14__hip_bfloat16hL18Fp8KVCacheDataType1EEvPKT_S4_PT0_S6_PKliiiiiiff: ; @_Z24reshape_and_cache_kernelI14__hip_bfloat16hL18Fp8KVCacheDataType1EEvPKT_S4_PT0_S6_PKliiiiiiff
; %bb.0:
	s_load_b64 s[2:3], s[0:1], 0x20
	s_bfe_u32 s4, ttmp6, 0x4000c
	s_and_b32 s5, ttmp6, 15
	s_add_co_i32 s4, s4, 1
	s_getreg_b32 s6, hwreg(HW_REG_IB_STS2, 6, 4)
	s_mul_i32 s4, ttmp9, s4
	s_mov_b32 s27, 0
	s_add_co_i32 s5, s5, s4
	s_cmp_eq_u32 s6, 0
	s_cselect_b32 s26, ttmp9, s5
	s_wait_kmcnt 0x0
	s_load_b64 s[22:23], s[2:3], s26 offset:0x0 scale_offset
	s_wait_kmcnt 0x0
	v_cmp_lt_i64_e64 s2, s[22:23], 0
	s_and_b32 vcc_lo, exec_lo, s2
	s_cbranch_vccnz .LBB1_291
; %bb.1:
	s_load_b256 s[4:11], s[0:1], 0x28
	s_wait_kmcnt 0x0
	s_ashr_i32 s25, s8, 31
	s_mov_b32 s24, s8
	s_delay_alu instid0(SALU_CYCLE_1) | instskip(NEXT) | instid1(SALU_CYCLE_1)
	s_or_b64 s[2:3], s[22:23], s[24:25]
	s_and_b64 s[2:3], s[2:3], 0xffffffff00000000
	s_delay_alu instid0(SALU_CYCLE_1)
	s_cmp_lg_u64 s[2:3], 0
	s_cbranch_scc0 .LBB1_292
; %bb.2:
	s_ashr_i32 s2, s25, 31
	s_delay_alu instid0(SALU_CYCLE_1) | instskip(NEXT) | instid1(SALU_CYCLE_1)
	s_mov_b32 s3, s2
	s_add_nc_u64 s[12:13], s[24:25], s[2:3]
	s_delay_alu instid0(SALU_CYCLE_1) | instskip(NEXT) | instid1(SALU_CYCLE_1)
	s_xor_b64 s[12:13], s[12:13], s[2:3]
	s_cvt_f32_u32 s14, s12
	s_cvt_f32_u32 s15, s13
	s_sub_nc_u64 s[18:19], 0, s[12:13]
	s_delay_alu instid0(SALU_CYCLE_2) | instskip(NEXT) | instid1(SALU_CYCLE_3)
	s_fmamk_f32 s14, s15, 0x4f800000, s14
	v_s_rcp_f32 s14, s14
	s_delay_alu instid0(TRANS32_DEP_1) | instskip(NEXT) | instid1(SALU_CYCLE_3)
	s_mul_f32 s14, s14, 0x5f7ffffc
	s_mul_f32 s15, s14, 0x2f800000
	s_delay_alu instid0(SALU_CYCLE_3) | instskip(NEXT) | instid1(SALU_CYCLE_3)
	s_trunc_f32 s15, s15
	s_fmamk_f32 s14, s15, 0xcf800000, s14
	s_cvt_u32_f32 s17, s15
	s_mov_b32 s15, 0
	s_delay_alu instid0(SALU_CYCLE_1) | instskip(NEXT) | instid1(SALU_CYCLE_3)
	s_cvt_u32_f32 s16, s14
	s_mul_u64 s[20:21], s[18:19], s[16:17]
	s_delay_alu instid0(SALU_CYCLE_1)
	s_mul_hi_u32 s29, s16, s21
	s_mul_i32 s28, s16, s21
	s_mul_hi_u32 s14, s16, s20
	s_mul_i32 s31, s17, s20
	s_add_nc_u64 s[28:29], s[14:15], s[28:29]
	s_mul_hi_u32 s30, s17, s20
	s_mul_hi_u32 s33, s17, s21
	s_add_co_u32 s14, s28, s31
	s_add_co_ci_u32 s14, s29, s30
	s_mul_i32 s20, s17, s21
	s_add_co_ci_u32 s21, s33, 0
	s_delay_alu instid0(SALU_CYCLE_1) | instskip(NEXT) | instid1(SALU_CYCLE_1)
	s_add_nc_u64 s[20:21], s[14:15], s[20:21]
	s_add_co_u32 s16, s16, s20
	s_cselect_b32 s14, -1, 0
	s_delay_alu instid0(SALU_CYCLE_1) | instskip(SKIP_1) | instid1(SALU_CYCLE_1)
	s_cmp_lg_u32 s14, 0
	s_add_co_ci_u32 s17, s17, s21
	s_mul_u64 s[18:19], s[18:19], s[16:17]
	s_delay_alu instid0(SALU_CYCLE_1)
	s_mul_hi_u32 s21, s16, s19
	s_mul_i32 s20, s16, s19
	s_mul_hi_u32 s14, s16, s18
	s_mul_i32 s29, s17, s18
	s_add_nc_u64 s[20:21], s[14:15], s[20:21]
	s_mul_hi_u32 s28, s17, s18
	s_mul_hi_u32 s30, s17, s19
	s_add_co_u32 s14, s20, s29
	s_add_co_ci_u32 s14, s21, s28
	s_mul_i32 s18, s17, s19
	s_add_co_ci_u32 s19, s30, 0
	s_delay_alu instid0(SALU_CYCLE_1) | instskip(NEXT) | instid1(SALU_CYCLE_1)
	s_add_nc_u64 s[18:19], s[14:15], s[18:19]
	s_add_co_u32 s28, s16, s18
	s_cselect_b32 s14, -1, 0
	s_delay_alu instid0(SALU_CYCLE_1) | instskip(SKIP_2) | instid1(SALU_CYCLE_1)
	s_cmp_lg_u32 s14, 0
	s_add_co_ci_u32 s29, s17, s19
	s_ashr_i32 s16, s23, 31
	s_mov_b32 s17, s16
	s_delay_alu instid0(SALU_CYCLE_1) | instskip(NEXT) | instid1(SALU_CYCLE_1)
	s_add_nc_u64 s[18:19], s[22:23], s[16:17]
	s_xor_b64 s[18:19], s[18:19], s[16:17]
	s_delay_alu instid0(SALU_CYCLE_1)
	s_mul_hi_u32 s21, s18, s29
	s_mul_i32 s20, s18, s29
	s_mul_hi_u32 s14, s18, s28
	s_mul_i32 s33, s19, s28
	s_add_nc_u64 s[20:21], s[14:15], s[20:21]
	s_mul_hi_u32 s31, s19, s28
	s_mul_hi_u32 s30, s19, s29
	s_add_co_u32 s14, s20, s33
	s_add_co_ci_u32 s14, s21, s31
	s_mul_i32 s28, s19, s29
	s_add_co_ci_u32 s29, s30, 0
	s_delay_alu instid0(SALU_CYCLE_1) | instskip(NEXT) | instid1(SALU_CYCLE_1)
	s_add_nc_u64 s[20:21], s[14:15], s[28:29]
	s_and_b64 s[28:29], s[20:21], 0xffffffff00000000
	s_delay_alu instid0(SALU_CYCLE_1) | instskip(NEXT) | instid1(SALU_CYCLE_1)
	s_or_b32 s28, s28, s20
	s_mul_u64 s[20:21], s[12:13], s[28:29]
	s_delay_alu instid0(SALU_CYCLE_1)
	s_sub_co_u32 s14, s18, s20
	s_cselect_b32 s18, -1, 0
	s_sub_co_i32 s20, s19, s21
	s_cmp_lg_u32 s18, 0
	s_sub_co_ci_u32 s20, s20, s13
	s_sub_co_u32 s30, s14, s12
	s_cselect_b32 s31, -1, 0
	s_delay_alu instid0(SALU_CYCLE_1) | instskip(SKIP_1) | instid1(SALU_CYCLE_1)
	s_cmp_lg_u32 s31, 0
	s_sub_co_ci_u32 s20, s20, 0
	s_cmp_ge_u32 s20, s13
	s_cselect_b32 s33, -1, 0
	s_cmp_ge_u32 s30, s12
	s_add_nc_u64 s[30:31], s[28:29], 1
	s_cselect_b32 s34, -1, 0
	s_cmp_eq_u32 s20, s13
	s_cselect_b32 s20, s34, s33
	s_add_nc_u64 s[34:35], s[28:29], 2
	s_cmp_lg_u32 s20, 0
	s_cselect_b32 s20, s34, s30
	s_cselect_b32 s30, s35, s31
	s_cmp_lg_u32 s18, 0
	s_sub_co_ci_u32 s18, s19, s21
	s_delay_alu instid0(SALU_CYCLE_1)
	s_cmp_ge_u32 s18, s13
	s_cselect_b32 s19, -1, 0
	s_cmp_ge_u32 s14, s12
	s_cselect_b32 s12, -1, 0
	s_cmp_eq_u32 s18, s13
	s_cselect_b32 s12, s12, s19
	s_delay_alu instid0(SALU_CYCLE_1) | instskip(SKIP_3) | instid1(SALU_CYCLE_1)
	s_cmp_lg_u32 s12, 0
	s_cselect_b32 s13, s30, s29
	s_cselect_b32 s12, s20, s28
	s_xor_b64 s[2:3], s[16:17], s[2:3]
	s_xor_b64 s[12:13], s[12:13], s[2:3]
	s_delay_alu instid0(SALU_CYCLE_1)
	s_sub_nc_u64 s[28:29], s[12:13], s[2:3]
	s_cbranch_execnz .LBB1_4
.LBB1_3:
	v_cvt_f32_u32_e32 v1, s24
	s_sub_co_i32 s3, 0, s24
	s_mov_b32 s29, 0
	s_delay_alu instid0(VALU_DEP_1) | instskip(SKIP_1) | instid1(TRANS32_DEP_1)
	v_rcp_iflag_f32_e32 v1, v1
	v_nop
	v_mul_f32_e32 v1, 0x4f7ffffe, v1
	s_delay_alu instid0(VALU_DEP_1) | instskip(NEXT) | instid1(VALU_DEP_1)
	v_cvt_u32_f32_e32 v1, v1
	v_readfirstlane_b32 s2, v1
	s_mul_i32 s3, s3, s2
	s_delay_alu instid0(SALU_CYCLE_1) | instskip(NEXT) | instid1(SALU_CYCLE_1)
	s_mul_hi_u32 s3, s2, s3
	s_add_co_i32 s2, s2, s3
	s_delay_alu instid0(SALU_CYCLE_1) | instskip(NEXT) | instid1(SALU_CYCLE_1)
	s_mul_hi_u32 s2, s22, s2
	s_mul_i32 s3, s2, s24
	s_add_co_i32 s12, s2, 1
	s_sub_co_i32 s3, s22, s3
	s_delay_alu instid0(SALU_CYCLE_1)
	s_sub_co_i32 s13, s3, s24
	s_cmp_ge_u32 s3, s24
	s_cselect_b32 s2, s12, s2
	s_cselect_b32 s3, s13, s3
	s_add_co_i32 s12, s2, 1
	s_cmp_ge_u32 s3, s24
	s_cselect_b32 s28, s12, s2
.LBB1_4:
	s_abs_i32 s2, s9
	s_abs_i32 s13, s7
	s_cvt_f32_u32 s3, s2
	s_sub_co_i32 s12, 0, s2
	s_mov_b32 s21, 0
	s_delay_alu instid0(SALU_CYCLE_1) | instskip(SKIP_1) | instid1(TRANS32_DEP_1)
	v_rcp_iflag_f32_e32 v1, s3
	v_nop
	v_readfirstlane_b32 s3, v1
	s_mul_f32 s3, s3, 0x4f7ffffe
	s_delay_alu instid0(SALU_CYCLE_3) | instskip(NEXT) | instid1(SALU_CYCLE_3)
	s_cvt_u32_f32 s3, s3
	s_mul_i32 s12, s12, s3
	s_delay_alu instid0(SALU_CYCLE_1) | instskip(NEXT) | instid1(SALU_CYCLE_1)
	s_mul_hi_u32 s12, s3, s12
	s_add_co_i32 s3, s3, s12
	s_xor_b32 s12, s7, s9
	s_mul_hi_u32 s3, s13, s3
	s_ashr_i32 s12, s12, 31
	s_mul_i32 s14, s3, s2
	s_delay_alu instid0(SALU_CYCLE_1)
	s_sub_co_i32 s13, s13, s14
	s_add_co_i32 s14, s3, 1
	s_sub_co_i32 s15, s13, s2
	s_cmp_ge_u32 s13, s2
	s_cselect_b32 s3, s14, s3
	s_cselect_b32 s13, s15, s13
	s_add_co_i32 s14, s3, 1
	s_cmp_ge_u32 s13, s2
	s_cselect_b32 s2, s14, s3
	s_mov_b32 s3, exec_lo
	s_xor_b32 s2, s2, s12
	s_delay_alu instid0(SALU_CYCLE_1) | instskip(NEXT) | instid1(SALU_CYCLE_1)
	s_sub_co_i32 s2, s2, s12
	s_mul_i32 s30, s2, s6
	s_delay_alu instid0(SALU_CYCLE_1)
	v_cmpx_gt_i32_e64 s30, v0
	s_cbranch_execz .LBB1_291
; %bb.5:
	s_ashr_i32 s13, s4, 31
	s_mov_b32 s12, s4
	s_and_b32 s4, s9, 7
	s_mul_u64 s[12:13], s[12:13], s[26:27]
	s_ashr_i32 s35, s5, 31
	s_lshl_b64 s[36:37], s[12:13], 1
	s_ashr_i32 s39, s6, 31
	s_ashr_i32 s3, s2, 31
	;; [unrolled: 1-line block ×3, first 2 shown]
	s_cmp_eq_u32 s4, 0
	s_mov_b32 s34, s5
	s_cselect_b32 s44, -1, 0
	s_ashr_i32 s31, s9, 3
	s_mul_u64 s[4:5], s[34:35], s[26:27]
	s_cmp_gt_i32 s31, 0
	s_load_b256 s[12:19], s[0:1], 0x0
	s_cselect_b32 s26, -1, 0
	s_lshl_b64 s[34:35], s[4:5], 1
	s_cmp_gt_i32 s9, 0
	s_load_b32 s20, s[0:1], 0x54
	s_cselect_b32 s27, -1, 0
	s_abs_i32 s33, s2
	s_mov_b32 s38, s6
	s_cvt_f32_u32 s4, s33
	s_mul_u64 s[38:39], s[38:39], s[2:3]
	s_mov_b32 s40, s9
	s_mul_u64 s[42:43], s[28:29], s[24:25]
	v_rcp_iflag_f32_e32 v1, s4
	s_wait_xcnt 0x0
	s_mul_u64 s[0:1], s[38:39], s[28:29]
	s_mul_u64 s[24:25], s[40:41], s[24:25]
	s_sub_nc_u64 s[4:5], s[22:23], s[42:43]
	s_mul_u64 s[24:25], s[24:25], s[0:1]
	v_mov_b32_e32 v7, 0
	s_mul_i32 s1, s9, s8
	v_readfirstlane_b32 s6, v1
	s_wait_kmcnt 0x0
	s_add_nc_u64 s[18:19], s[18:19], s[24:25]
	s_add_nc_u64 s[24:25], s[38:39], -1
	s_add_nc_u64 s[12:13], s[12:13], s[36:37]
	s_mul_u64 s[24:25], s[42:43], s[24:25]
	s_mul_f32 s0, s6, 0x4f7ffffe
	s_and_b32 s6, s20, 0xffff
	s_sub_co_i32 s20, 0, s33
	s_add_nc_u64 s[22:23], s[22:23], s[24:25]
	s_cvt_u32_f32 s0, s0
	s_mul_u64 s[22:23], s[22:23], s[40:41]
	s_add_nc_u64 s[14:15], s[14:15], s[34:35]
	s_add_nc_u64 s[16:17], s[16:17], s[22:23]
	s_mul_i32 s20, s20, s0
	s_xor_b32 s24, s44, -1
	s_mul_hi_u32 s20, s0, s20
	s_mov_b32 s25, s21
	s_add_co_i32 s20, s0, s20
	s_branch .LBB1_7
.LBB1_6:                                ;   in Loop: Header=BB1_7 Depth=1
	v_add_nc_u32_e32 v0, s6, v0
	s_delay_alu instid0(VALU_DEP_1)
	v_cmp_le_i32_e32 vcc_lo, s30, v0
	s_or_b32 s25, vcc_lo, s25
	s_wait_xcnt 0x0
	s_and_not1_b32 exec_lo, exec_lo, s25
	s_cbranch_execz .LBB1_291
.LBB1_7:                                ; =>This Loop Header: Depth=1
                                        ;     Child Loop BB1_12 Depth 2
                                        ;     Child Loop BB1_29 Depth 2
                                        ;     Child Loop BB1_144 Depth 2
                                        ;     Child Loop BB1_163 Depth 2
                                        ;     Child Loop BB1_278 Depth 2
	v_sub_nc_u32_e32 v1, 0, v0
	s_delay_alu instid0(VALU_DEP_1) | instskip(NEXT) | instid1(VALU_DEP_1)
	v_max_i32_e32 v6, v0, v1
	v_mul_u64_e32 v[2:3], s[20:21], v[6:7]
	s_delay_alu instid0(VALU_DEP_1) | instskip(NEXT) | instid1(VALU_DEP_1)
	v_mul_lo_u32 v1, v3, s33
	v_dual_add_nc_u32 v2, 1, v3 :: v_dual_sub_nc_u32 v1, v6, v1
	s_delay_alu instid0(VALU_DEP_1) | instskip(NEXT) | instid1(VALU_DEP_2)
	v_cmp_le_u32_e32 vcc_lo, s33, v1
	v_dual_cndmask_b32 v2, v3, v2 :: v_dual_ashrrev_i32 v3, 31, v0
	v_subrev_nc_u32_e32 v4, s33, v1
	s_delay_alu instid0(VALU_DEP_1) | instskip(NEXT) | instid1(VALU_DEP_1)
	v_dual_cndmask_b32 v1, v1, v4 :: v_dual_add_nc_u32 v4, 1, v2
	v_cmp_le_u32_e32 vcc_lo, s33, v1
	s_delay_alu instid0(VALU_DEP_2) | instskip(NEXT) | instid1(VALU_DEP_1)
	v_dual_cndmask_b32 v1, v2, v4, vcc_lo :: v_dual_bitop2_b32 v3, s3, v3 bitop3:0x14
	v_xor_b32_e32 v1, v1, v3
	s_delay_alu instid0(VALU_DEP_1) | instskip(NEXT) | instid1(VALU_DEP_1)
	v_sub_nc_u32_e32 v1, v1, v3
	v_mul_lo_u32 v4, v1, s2
	v_mul_lo_u32 v8, v1, s7
	s_delay_alu instid0(VALU_DEP_2) | instskip(NEXT) | instid1(VALU_DEP_2)
	v_sub_nc_u32_e32 v1, v0, v4
	v_ashrrev_i32_e32 v9, 31, v8
	v_mul_lo_u32 v12, v4, s1
	s_delay_alu instid0(VALU_DEP_3) | instskip(NEXT) | instid1(VALU_DEP_3)
	v_mul_lo_u32 v14, s1, v1
	v_lshl_add_u64 v[2:3], v[8:9], 1, s[12:13]
	s_delay_alu instid0(VALU_DEP_2) | instskip(SKIP_1) | instid1(VALU_DEP_1)
	v_dual_ashrrev_i32 v13, 31, v12 :: v_dual_ashrrev_i32 v15, 31, v14
	v_mul_lo_u32 v10, v1, s9
	v_ashrrev_i32_e32 v11, 31, v10
	s_delay_alu instid0(VALU_DEP_1) | instskip(NEXT) | instid1(VALU_DEP_1)
	v_lshl_add_u64 v[16:17], v[10:11], 1, v[2:3]
	v_and_b32_e32 v6, 15, v16
	s_delay_alu instid0(VALU_DEP_1) | instskip(SKIP_1) | instid1(SALU_CYCLE_1)
	v_cmp_ne_u64_e32 vcc_lo, 0, v[6:7]
	s_or_b32 s0, s24, vcc_lo
	s_and_saveexec_b32 s22, s0
	s_delay_alu instid0(SALU_CYCLE_1)
	s_xor_b32 s22, exec_lo, s22
	s_cbranch_execz .LBB1_158
; %bb.8:                                ;   in Loop: Header=BB1_7 Depth=1
	v_sub_nc_u32_e32 v1, 0, v16
	s_mov_b32 s23, exec_lo
	s_delay_alu instid0(VALU_DEP_1) | instskip(NEXT) | instid1(VALU_DEP_1)
	v_bfe_u32 v1, v1, 1, 3
	v_min_i32_e32 v18, s9, v1
	s_delay_alu instid0(VALU_DEP_1)
	v_cmpx_lt_i32_e32 0, v18
	s_cbranch_execz .LBB1_25
; %bb.9:                                ;   in Loop: Header=BB1_7 Depth=1
	v_add_nc_u64_e32 v[2:3], v[12:13], v[14:15]
	v_mov_b64_e32 v[4:5], v[16:17]
	v_mov_b32_e32 v1, v18
	s_mov_b32 s28, 0
	s_delay_alu instid0(VALU_DEP_3)
	v_add_nc_u64_e32 v[2:3], s[16:17], v[2:3]
	s_branch .LBB1_12
.LBB1_10:                               ;   in Loop: Header=BB1_12 Depth=2
	s_or_b32 exec_lo, exec_lo, s0
.LBB1_11:                               ;   in Loop: Header=BB1_12 Depth=2
	s_delay_alu instid0(SALU_CYCLE_1)
	s_or_b32 exec_lo, exec_lo, s29
	v_add_nc_u32_e32 v1, -1, v1
	global_store_b8 v[2:3], v6, off
	v_add_nc_u64_e32 v[4:5], 2, v[4:5]
	s_wait_xcnt 0x0
	v_add_nc_u64_e32 v[2:3], 1, v[2:3]
	v_cmp_eq_u32_e32 vcc_lo, 0, v1
	s_or_b32 s28, vcc_lo, s28
	s_delay_alu instid0(SALU_CYCLE_1)
	s_and_not1_b32 exec_lo, exec_lo, s28
	s_cbranch_execz .LBB1_25
.LBB1_12:                               ;   Parent Loop BB1_7 Depth=1
                                        ; =>  This Inner Loop Header: Depth=2
	global_load_u16 v6, v[4:5], off
	s_wait_loadcnt 0x0
	v_lshlrev_b32_e32 v6, 16, v6
	s_delay_alu instid0(VALU_DEP_1) | instskip(NEXT) | instid1(VALU_DEP_1)
	v_div_scale_f32 v19, null, s10, s10, v6
	v_rcp_f32_e32 v20, v19
	v_nop
	s_delay_alu instid0(TRANS32_DEP_1) | instskip(NEXT) | instid1(VALU_DEP_1)
	v_fma_f32 v21, -v19, v20, 1.0
	v_fmac_f32_e32 v20, v21, v20
	v_div_scale_f32 v21, vcc_lo, v6, s10, v6
	s_delay_alu instid0(VALU_DEP_1) | instskip(NEXT) | instid1(VALU_DEP_1)
	v_mul_f32_e32 v22, v21, v20
	v_fma_f32 v23, -v19, v22, v21
	s_delay_alu instid0(VALU_DEP_1) | instskip(NEXT) | instid1(VALU_DEP_1)
	v_fmac_f32_e32 v22, v23, v20
	v_fma_f32 v19, -v19, v22, v21
	s_delay_alu instid0(VALU_DEP_1) | instskip(NEXT) | instid1(VALU_DEP_1)
	v_div_fmas_f32 v19, v19, v20, v22
	v_div_fixup_f32 v19, v19, s10, v6
	s_delay_alu instid0(VALU_DEP_1) | instskip(NEXT) | instid1(VALU_DEP_1)
	v_and_b32_e32 v6, 0x7f800000, v19
	v_cmp_ne_u64_e32 vcc_lo, 0x7f800000, v[6:7]
	v_mov_b32_e32 v6, 0x80
	s_wait_xcnt 0x0
	s_and_saveexec_b32 s29, vcc_lo
	s_cbranch_execz .LBB1_11
; %bb.13:                               ;   in Loop: Header=BB1_12 Depth=2
	v_and_b32_e32 v6, 0x7fffffff, v19
	s_delay_alu instid0(VALU_DEP_1) | instskip(SKIP_1) | instid1(SALU_CYCLE_1)
	v_cmp_gt_u64_e32 vcc_lo, 0x43700001, v[6:7]
                                        ; implicit-def: $vgpr6
	s_and_saveexec_b32 s0, vcc_lo
	s_xor_b32 s34, exec_lo, s0
	s_cbranch_execz .LBB1_23
; %bb.14:                               ;   in Loop: Header=BB1_12 Depth=2
	v_mov_b32_e32 v6, 0
	s_mov_b32 s35, exec_lo
	v_cmpx_ne_u32_e32 0, v19
	s_cbranch_execz .LBB1_22
; %bb.15:                               ;   in Loop: Header=BB1_12 Depth=2
	v_bfe_u32 v24, v19, 23, 8
	s_delay_alu instid0(VALU_DEP_1) | instskip(SKIP_1) | instid1(VALU_DEP_2)
	v_sub_nc_u32_e32 v6, 0x78, v24
	v_cmp_gt_u32_e32 vcc_lo, 0x79, v24
	v_cndmask_b32_e32 v6, 0, v6, vcc_lo
	v_cmp_eq_u32_e32 vcc_lo, 0, v24
	s_delay_alu instid0(VALU_DEP_2) | instskip(SKIP_1) | instid1(VALU_DEP_2)
	v_cndmask_b32_e64 v25, v6, 0x77, vcc_lo
	v_and_b32_e32 v6, 0x7fffff, v19
	v_add_nc_u32_e32 v20, 20, v25
	s_delay_alu instid0(VALU_DEP_2) | instskip(SKIP_1) | instid1(VALU_DEP_3)
	v_or_b32_e32 v22, 0x800000, v6
	v_add_nc_u32_e32 v23, 19, v25
	v_lshlrev_b64_e64 v[20:21], v20, -1
	s_delay_alu instid0(VALU_DEP_3) | instskip(NEXT) | instid1(VALU_DEP_3)
	v_cndmask_b32_e32 v6, v22, v6, vcc_lo
	v_lshlrev_b64_e64 v[22:23], v23, 1
	s_delay_alu instid0(VALU_DEP_3) | instskip(NEXT) | instid1(VALU_DEP_3)
	v_bfi_b32 v27, v21, 0, 0
	v_bfi_b32 v26, v20, 0, v6
	v_lshrrev_b64 v[20:21], v25, v[6:7]
	s_delay_alu instid0(VALU_DEP_2) | instskip(NEXT) | instid1(VALU_DEP_2)
	v_cmp_eq_u64_e64 s0, v[26:27], v[22:23]
	v_mov_b64_e32 v[22:23], v[20:21]
	s_and_saveexec_b32 s36, s0
; %bb.16:                               ;   in Loop: Header=BB1_12 Depth=2
	v_bfe_u32 v6, v20, 20, 1
	s_delay_alu instid0(VALU_DEP_1) | instskip(NEXT) | instid1(VALU_DEP_1)
	v_add_nc_u64_e32 v[22:23], v[20:21], v[6:7]
	v_add_nc_u64_e32 v[22:23], -1, v[22:23]
; %bb.17:                               ;   in Loop: Header=BB1_12 Depth=2
	s_or_b32 exec_lo, exec_lo, s36
	v_add_nc_u32_e32 v6, 0xffffff81, v24
	v_lshrrev_b32_e32 v21, 23, v20
	s_mov_b32 s0, exec_lo
	s_delay_alu instid0(VALU_DEP_2) | instskip(NEXT) | instid1(VALU_DEP_1)
	v_cndmask_b32_e64 v6, v6, 0xffffff82, vcc_lo
	v_add3_u32 v23, v25, v6, v21
	v_and_b32_e32 v6, 0xfffff, v22
                                        ; implicit-def: $vgpr22
	s_delay_alu instid0(VALU_DEP_1) | instskip(NEXT) | instid1(VALU_DEP_1)
	v_dual_add_nc_u32 v24, 7, v23 :: v_dual_add_nc_u32 v6, v6, v20
                                        ; implicit-def: $vgpr20_vgpr21
	v_cmpx_ne_u32_e32 0, v24
	s_xor_b32 s0, exec_lo, s0
; %bb.18:                               ;   in Loop: Header=BB1_12 Depth=2
	s_delay_alu instid0(VALU_DEP_2) | instskip(SKIP_1) | instid1(VALU_DEP_1)
	v_cmp_lt_u64_e32 vcc_lo, 0xffffff, v[6:7]
	v_add_nc_u32_e32 v20, 8, v23
	v_cndmask_b32_e32 v22, v24, v20, vcc_lo
	v_cndmask_b32_e64 v20, 0, 1, vcc_lo
	s_delay_alu instid0(VALU_DEP_1)
	v_lshrrev_b64 v[20:21], v20, v[6:7]
; %bb.19:                               ;   in Loop: Header=BB1_12 Depth=2
	s_and_not1_saveexec_b32 s0, s0
; %bb.20:                               ;   in Loop: Header=BB1_12 Depth=2
	v_mov_b64_e32 v[20:21], v[6:7]
	v_bfe_u32 v22, v6, 23, 1
; %bb.21:                               ;   in Loop: Header=BB1_12 Depth=2
	s_or_b32 exec_lo, exec_lo, s0
	s_delay_alu instid0(VALU_DEP_2) | instskip(NEXT) | instid1(VALU_DEP_2)
	v_lshrrev_b64 v[20:21], 20, v[20:21]
	v_dual_lshrrev_b32 v6, 24, v19 :: v_dual_min_i32 v19, 15, v22
	v_cmp_gt_i32_e32 vcc_lo, 16, v22
	v_cmp_eq_u32_e64 s0, 0, v22
	s_delay_alu instid0(VALU_DEP_3) | instskip(SKIP_1) | instid1(VALU_DEP_2)
	v_and_b32_e32 v6, 0x80, v6
	v_dual_cndmask_b32 v21, 0, v21 :: v_dual_cndmask_b32 v20, 7, v20
	v_lshl_or_b32 v6, v19, 3, v6
	s_delay_alu instid0(VALU_DEP_2) | instskip(NEXT) | instid1(VALU_DEP_2)
	v_cmp_eq_u64_e32 vcc_lo, 0, v[20:21]
	v_and_or_b32 v6, v20, 7, v6
	s_and_b32 s0, s0, vcc_lo
	s_delay_alu instid0(VALU_DEP_1) | instid1(SALU_CYCLE_1)
	v_cndmask_b32_e64 v6, v6, 0, s0
.LBB1_22:                               ;   in Loop: Header=BB1_12 Depth=2
	s_or_b32 exec_lo, exec_lo, s35
                                        ; implicit-def: $vgpr19
.LBB1_23:                               ;   in Loop: Header=BB1_12 Depth=2
	s_and_not1_saveexec_b32 s0, s34
	s_cbranch_execz .LBB1_10
; %bb.24:                               ;   in Loop: Header=BB1_12 Depth=2
	v_lshrrev_b32_e32 v6, 24, v19
	s_delay_alu instid0(VALU_DEP_1)
	v_or_b32_e32 v6, 0x7f, v6
	s_branch .LBB1_10
.LBB1_25:                               ;   in Loop: Header=BB1_7 Depth=1
	s_or_b32 exec_lo, exec_lo, s23
	v_dual_sub_nc_u32 v1, s9, v18 :: v_dual_ashrrev_i32 v19, 31, v18
	s_mov_b32 s23, exec_lo
	s_delay_alu instid0(VALU_DEP_1) | instskip(NEXT) | instid1(VALU_DEP_1)
	v_ashrrev_i32_e32 v2, 31, v1
	v_lshrrev_b32_e32 v2, 29, v2
	s_delay_alu instid0(VALU_DEP_1) | instskip(NEXT) | instid1(VALU_DEP_1)
	v_add_nc_u32_e32 v2, v1, v2
	v_ashrrev_i32_e32 v38, 3, v2
	v_cmpx_lt_i32_e32 7, v1
	s_cbranch_execz .LBB1_140
; %bb.26:                               ;   in Loop: Header=BB1_7 Depth=1
	v_add_nc_u64_e32 v[2:3], v[18:19], v[12:13]
	v_lshl_add_u64 v[16:17], v[18:19], 1, v[16:17]
	v_mov_b32_e32 v39, v38
	s_mov_b32 s28, 0
	s_delay_alu instid0(VALU_DEP_3) | instskip(NEXT) | instid1(VALU_DEP_1)
	v_add_nc_u64_e32 v[2:3], v[2:3], v[14:15]
	v_add_nc_u64_e32 v[20:21], s[16:17], v[2:3]
	s_branch .LBB1_29
.LBB1_27:                               ;   in Loop: Header=BB1_29 Depth=2
	s_or_b32 exec_lo, exec_lo, s0
.LBB1_28:                               ;   in Loop: Header=BB1_29 Depth=2
	s_delay_alu instid0(SALU_CYCLE_1) | instskip(SKIP_3) | instid1(VALU_DEP_3)
	s_or_b32 exec_lo, exec_lo, s29
	v_dual_lshlrev_b32 v3, 16, v34 :: v_dual_lshlrev_b32 v4, 16, v28
	v_dual_lshlrev_b32 v5, 24, v32 :: v_dual_lshlrev_b32 v6, 8, v30
	v_and_b32_e32 v2, 0xff, v2
	v_and_b32_e32 v3, 0xff0000, v3
	v_lshlrev_b32_e32 v23, 8, v24
	v_perm_b32 v4, v26, v4, 0x4020c0c
	v_and_b32_e32 v22, 0xff, v22
	v_and_b32_e32 v6, 0xff00, v6
	v_or_b32_e32 v3, v5, v3
	v_add_nc_u64_e32 v[16:17], 16, v[16:17]
	v_and_or_b32 v4, 0xff00, v23, v4
	v_add_nc_u32_e32 v39, -1, v39
	s_delay_alu instid0(VALU_DEP_4) | instskip(NEXT) | instid1(VALU_DEP_3)
	v_or3_b32 v3, v3, v6, v2
	v_or_b32_e32 v2, v4, v22
	s_delay_alu instid0(VALU_DEP_3) | instskip(SKIP_4) | instid1(SALU_CYCLE_1)
	v_cmp_eq_u32_e32 vcc_lo, 0, v39
	global_store_b64 v[20:21], v[2:3], off
	s_wait_xcnt 0x0
	v_add_nc_u64_e32 v[20:21], 8, v[20:21]
	s_or_b32 s28, vcc_lo, s28
	s_and_not1_b32 exec_lo, exec_lo, s28
	s_cbranch_execz .LBB1_140
.LBB1_29:                               ;   Parent Loop BB1_7 Depth=1
                                        ; =>  This Inner Loop Header: Depth=2
	global_load_b128 v[2:5], v[16:17], off
	s_mov_b32 s29, exec_lo
	s_wait_loadcnt 0x0
	v_lshlrev_b32_e32 v6, 16, v2
	s_delay_alu instid0(VALU_DEP_1) | instskip(NEXT) | instid1(VALU_DEP_1)
	v_div_scale_f32 v22, null, s10, s10, v6
	v_rcp_f32_e32 v23, v22
	v_nop
	s_delay_alu instid0(TRANS32_DEP_1) | instskip(NEXT) | instid1(VALU_DEP_1)
	v_fma_f32 v24, -v22, v23, 1.0
	v_fmac_f32_e32 v23, v24, v23
	v_div_scale_f32 v25, vcc_lo, v6, s10, v6
	s_delay_alu instid0(VALU_DEP_1) | instskip(NEXT) | instid1(VALU_DEP_1)
	v_mul_f32_e32 v24, v25, v23
	v_fma_f32 v26, -v22, v24, v25
	s_delay_alu instid0(VALU_DEP_1) | instskip(NEXT) | instid1(VALU_DEP_1)
	v_fmac_f32_e32 v24, v26, v23
	v_fma_f32 v22, -v22, v24, v25
	s_delay_alu instid0(VALU_DEP_1) | instskip(SKIP_1) | instid1(VALU_DEP_2)
	v_div_fmas_f32 v22, v22, v23, v24
	v_mov_b64_e32 v[24:25], 0x80
	v_div_fixup_f32 v26, v22, s10, v6
	v_mov_b64_e32 v[22:23], 0x80
	s_delay_alu instid0(VALU_DEP_2) | instskip(SKIP_1) | instid1(VALU_DEP_1)
	v_and_b32_e32 v6, 0x7f800000, v26
	s_wait_xcnt 0x0
	v_cmpx_ne_u64_e32 0x7f800000, v[6:7]
	s_cbranch_execz .LBB1_43
; %bb.30:                               ;   in Loop: Header=BB1_29 Depth=2
	v_and_b32_e32 v6, 0x7fffffff, v26
	v_lshrrev_b32_e32 v25, 24, v26
                                        ; implicit-def: $vgpr22_vgpr23
	s_mov_b32 s0, exec_lo
	s_delay_alu instid0(VALU_DEP_2)
	v_cmpx_gt_u64_e32 0x43700001, v[6:7]
	s_xor_b32 s34, exec_lo, s0
	s_cbranch_execz .LBB1_40
; %bb.31:                               ;   in Loop: Header=BB1_29 Depth=2
	v_mov_b64_e32 v[22:23], 0
	s_mov_b32 s35, exec_lo
	v_cmpx_ne_u32_e32 0, v26
	s_cbranch_execz .LBB1_39
; %bb.32:                               ;   in Loop: Header=BB1_29 Depth=2
	v_bfe_u32 v28, v26, 23, 8
	s_delay_alu instid0(VALU_DEP_1) | instskip(SKIP_1) | instid1(VALU_DEP_2)
	v_sub_nc_u32_e32 v6, 0x78, v28
	v_cmp_gt_u32_e32 vcc_lo, 0x79, v28
	v_cndmask_b32_e32 v6, 0, v6, vcc_lo
	v_cmp_eq_u32_e32 vcc_lo, 0, v28
	s_delay_alu instid0(VALU_DEP_2) | instskip(SKIP_1) | instid1(VALU_DEP_2)
	v_cndmask_b32_e64 v29, v6, 0x77, vcc_lo
	v_and_b32_e32 v6, 0x7fffff, v26
	v_add_nc_u32_e32 v22, 20, v29
	s_delay_alu instid0(VALU_DEP_2) | instskip(SKIP_1) | instid1(VALU_DEP_3)
	v_or_b32_e32 v26, 0x800000, v6
	v_add_nc_u32_e32 v27, 19, v29
	v_lshlrev_b64_e64 v[22:23], v22, -1
	s_delay_alu instid0(VALU_DEP_3) | instskip(NEXT) | instid1(VALU_DEP_3)
	v_cndmask_b32_e32 v6, v26, v6, vcc_lo
	v_lshlrev_b64_e64 v[26:27], v27, 1
	s_delay_alu instid0(VALU_DEP_3) | instskip(NEXT) | instid1(VALU_DEP_3)
	v_bfi_b32 v31, v23, 0, 0
	v_bfi_b32 v30, v22, 0, v6
	v_lshrrev_b64 v[22:23], v29, v[6:7]
	s_delay_alu instid0(VALU_DEP_2) | instskip(NEXT) | instid1(VALU_DEP_2)
	v_cmp_eq_u64_e64 s0, v[30:31], v[26:27]
	v_mov_b64_e32 v[26:27], v[22:23]
	s_and_saveexec_b32 s36, s0
; %bb.33:                               ;   in Loop: Header=BB1_29 Depth=2
	v_bfe_u32 v6, v22, 20, 1
	s_delay_alu instid0(VALU_DEP_1) | instskip(NEXT) | instid1(VALU_DEP_1)
	v_add_nc_u64_e32 v[26:27], v[22:23], v[6:7]
	v_add_nc_u64_e32 v[26:27], -1, v[26:27]
; %bb.34:                               ;   in Loop: Header=BB1_29 Depth=2
	s_or_b32 exec_lo, exec_lo, s36
	v_add_nc_u32_e32 v6, 0xffffff81, v28
	v_lshrrev_b32_e32 v23, 23, v22
	s_mov_b32 s0, exec_lo
	s_delay_alu instid0(VALU_DEP_2) | instskip(NEXT) | instid1(VALU_DEP_1)
	v_cndmask_b32_e64 v6, v6, 0xffffff82, vcc_lo
	v_add3_u32 v27, v29, v6, v23
	v_and_b32_e32 v6, 0xfffff, v26
                                        ; implicit-def: $vgpr26
	s_delay_alu instid0(VALU_DEP_1) | instskip(NEXT) | instid1(VALU_DEP_1)
	v_dual_add_nc_u32 v28, 7, v27 :: v_dual_add_nc_u32 v6, v6, v22
                                        ; implicit-def: $vgpr22_vgpr23
	v_cmpx_ne_u32_e32 0, v28
	s_xor_b32 s0, exec_lo, s0
; %bb.35:                               ;   in Loop: Header=BB1_29 Depth=2
	s_delay_alu instid0(VALU_DEP_2) | instskip(SKIP_1) | instid1(VALU_DEP_1)
	v_cmp_lt_u64_e32 vcc_lo, 0xffffff, v[6:7]
	v_add_nc_u32_e32 v22, 8, v27
	v_cndmask_b32_e32 v26, v28, v22, vcc_lo
	v_cndmask_b32_e64 v22, 0, 1, vcc_lo
	s_delay_alu instid0(VALU_DEP_1)
	v_lshrrev_b64 v[22:23], v22, v[6:7]
; %bb.36:                               ;   in Loop: Header=BB1_29 Depth=2
	s_and_not1_saveexec_b32 s0, s0
; %bb.37:                               ;   in Loop: Header=BB1_29 Depth=2
	v_mov_b64_e32 v[22:23], v[6:7]
	v_bfe_u32 v26, v6, 23, 1
; %bb.38:                               ;   in Loop: Header=BB1_29 Depth=2
	s_or_b32 exec_lo, exec_lo, s0
	s_delay_alu instid0(VALU_DEP_2) | instskip(NEXT) | instid1(VALU_DEP_2)
	v_lshrrev_b64 v[22:23], 20, v[22:23]
	v_cmp_gt_i32_e32 vcc_lo, 16, v26
	v_and_b32_e32 v6, 0x80, v25
	v_min_i32_e32 v25, 15, v26
	v_cmp_eq_u32_e64 s0, 0, v26
	v_dual_cndmask_b32 v23, 0, v23 :: v_dual_cndmask_b32 v22, 7, v22
	s_delay_alu instid0(VALU_DEP_3) | instskip(NEXT) | instid1(VALU_DEP_2)
	v_lshl_or_b32 v6, v25, 3, v6
	v_cmp_eq_u64_e32 vcc_lo, 0, v[22:23]
	s_delay_alu instid0(VALU_DEP_2)
	v_and_or_b32 v6, v22, 7, v6
	s_and_b32 s0, s0, vcc_lo
	s_delay_alu instid0(VALU_DEP_1) | instid1(SALU_CYCLE_1)
	v_cndmask_b32_e64 v22, v6, 0, s0
.LBB1_39:                               ;   in Loop: Header=BB1_29 Depth=2
	s_or_b32 exec_lo, exec_lo, s35
                                        ; implicit-def: $vgpr25
.LBB1_40:                               ;   in Loop: Header=BB1_29 Depth=2
	s_and_not1_saveexec_b32 s0, s34
; %bb.41:                               ;   in Loop: Header=BB1_29 Depth=2
	v_or_b32_e32 v22, 0x7f, v25
; %bb.42:                               ;   in Loop: Header=BB1_29 Depth=2
	s_or_b32 exec_lo, exec_lo, s0
.LBB1_43:                               ;   in Loop: Header=BB1_29 Depth=2
	s_delay_alu instid0(SALU_CYCLE_1) | instskip(SKIP_2) | instid1(VALU_DEP_1)
	s_or_b32 exec_lo, exec_lo, s29
	v_and_b32_e32 v2, 0xffff0000, v2
	s_mov_b32 s29, exec_lo
	v_div_scale_f32 v6, null, s10, s10, v2
	s_delay_alu instid0(VALU_DEP_1) | instskip(SKIP_1) | instid1(TRANS32_DEP_1)
	v_rcp_f32_e32 v23, v6
	v_nop
	v_fma_f32 v25, -v6, v23, 1.0
	s_delay_alu instid0(VALU_DEP_1) | instskip(SKIP_1) | instid1(VALU_DEP_1)
	v_fmac_f32_e32 v23, v25, v23
	v_div_scale_f32 v25, vcc_lo, v2, s10, v2
	v_mul_f32_e32 v26, v25, v23
	s_delay_alu instid0(VALU_DEP_1) | instskip(NEXT) | instid1(VALU_DEP_1)
	v_fma_f32 v27, -v6, v26, v25
	v_fmac_f32_e32 v26, v27, v23
	s_delay_alu instid0(VALU_DEP_1) | instskip(NEXT) | instid1(VALU_DEP_1)
	v_fma_f32 v6, -v6, v26, v25
	v_div_fmas_f32 v6, v6, v23, v26
	s_delay_alu instid0(VALU_DEP_1) | instskip(NEXT) | instid1(VALU_DEP_1)
	v_div_fixup_f32 v23, v6, s10, v2
	v_and_b32_e32 v6, 0x7f800000, v23
	s_delay_alu instid0(VALU_DEP_1)
	v_cmpx_ne_u64_e32 0x7f800000, v[6:7]
	s_cbranch_execz .LBB1_57
; %bb.44:                               ;   in Loop: Header=BB1_29 Depth=2
	v_and_b32_e32 v6, 0x7fffffff, v23
	v_lshrrev_b32_e32 v2, 24, v23
                                        ; implicit-def: $vgpr24_vgpr25
	s_mov_b32 s0, exec_lo
	s_delay_alu instid0(VALU_DEP_2)
	v_cmpx_gt_u64_e32 0x43700001, v[6:7]
	s_xor_b32 s34, exec_lo, s0
	s_cbranch_execz .LBB1_54
; %bb.45:                               ;   in Loop: Header=BB1_29 Depth=2
	v_mov_b64_e32 v[24:25], 0
	s_mov_b32 s35, exec_lo
	v_cmpx_ne_u32_e32 0, v23
	s_cbranch_execz .LBB1_53
; %bb.46:                               ;   in Loop: Header=BB1_29 Depth=2
	v_bfe_u32 v28, v23, 23, 8
	s_delay_alu instid0(VALU_DEP_1) | instskip(SKIP_1) | instid1(VALU_DEP_2)
	v_sub_nc_u32_e32 v6, 0x78, v28
	v_cmp_gt_u32_e32 vcc_lo, 0x79, v28
	v_cndmask_b32_e32 v6, 0, v6, vcc_lo
	v_cmp_eq_u32_e32 vcc_lo, 0, v28
	s_delay_alu instid0(VALU_DEP_2) | instskip(SKIP_1) | instid1(VALU_DEP_2)
	v_cndmask_b32_e64 v29, v6, 0x77, vcc_lo
	v_and_b32_e32 v6, 0x7fffff, v23
	v_add_nc_u32_e32 v23, 20, v29
	s_delay_alu instid0(VALU_DEP_2) | instskip(NEXT) | instid1(VALU_DEP_2)
	v_or_b32_e32 v26, 0x800000, v6
	v_lshlrev_b64_e64 v[24:25], v23, -1
	s_delay_alu instid0(VALU_DEP_2) | instskip(NEXT) | instid1(VALU_DEP_1)
	v_dual_cndmask_b32 v6, v26, v6 :: v_dual_add_nc_u32 v23, 19, v29
	v_lshlrev_b64_e64 v[26:27], v23, 1
	s_delay_alu instid0(VALU_DEP_3) | instskip(NEXT) | instid1(VALU_DEP_3)
	v_bfi_b32 v31, v25, 0, 0
	v_bfi_b32 v30, v24, 0, v6
	v_lshrrev_b64 v[24:25], v29, v[6:7]
	s_delay_alu instid0(VALU_DEP_2) | instskip(NEXT) | instid1(VALU_DEP_2)
	v_cmp_eq_u64_e64 s0, v[30:31], v[26:27]
	v_mov_b64_e32 v[26:27], v[24:25]
	s_and_saveexec_b32 s36, s0
; %bb.47:                               ;   in Loop: Header=BB1_29 Depth=2
	v_bfe_u32 v6, v24, 20, 1
	s_delay_alu instid0(VALU_DEP_1) | instskip(NEXT) | instid1(VALU_DEP_1)
	v_add_nc_u64_e32 v[26:27], v[24:25], v[6:7]
	v_add_nc_u64_e32 v[26:27], -1, v[26:27]
; %bb.48:                               ;   in Loop: Header=BB1_29 Depth=2
	s_or_b32 exec_lo, exec_lo, s36
	v_add_nc_u32_e32 v6, 0xffffff81, v28
	v_lshrrev_b32_e32 v23, 23, v24
	s_mov_b32 s0, exec_lo
	s_delay_alu instid0(VALU_DEP_2) | instskip(NEXT) | instid1(VALU_DEP_1)
	v_cndmask_b32_e64 v6, v6, 0xffffff82, vcc_lo
	v_add3_u32 v27, v29, v6, v23
	v_and_b32_e32 v6, 0xfffff, v26
                                        ; implicit-def: $vgpr23
	s_delay_alu instid0(VALU_DEP_1) | instskip(NEXT) | instid1(VALU_DEP_1)
	v_dual_add_nc_u32 v26, 7, v27 :: v_dual_add_nc_u32 v6, v6, v24
                                        ; implicit-def: $vgpr24_vgpr25
	v_cmpx_ne_u32_e32 0, v26
	s_xor_b32 s0, exec_lo, s0
; %bb.49:                               ;   in Loop: Header=BB1_29 Depth=2
	s_delay_alu instid0(VALU_DEP_2) | instskip(SKIP_2) | instid1(VALU_DEP_2)
	v_cmp_lt_u64_e32 vcc_lo, 0xffffff, v[6:7]
	v_add_nc_u32_e32 v23, 8, v27
	v_cndmask_b32_e64 v24, 0, 1, vcc_lo
	v_cndmask_b32_e32 v23, v26, v23, vcc_lo
	s_delay_alu instid0(VALU_DEP_2)
	v_lshrrev_b64 v[24:25], v24, v[6:7]
; %bb.50:                               ;   in Loop: Header=BB1_29 Depth=2
	s_and_not1_saveexec_b32 s0, s0
; %bb.51:                               ;   in Loop: Header=BB1_29 Depth=2
	v_mov_b64_e32 v[24:25], v[6:7]
	v_bfe_u32 v23, v6, 23, 1
; %bb.52:                               ;   in Loop: Header=BB1_29 Depth=2
	s_or_b32 exec_lo, exec_lo, s0
	s_delay_alu instid0(VALU_DEP_2) | instskip(NEXT) | instid1(VALU_DEP_2)
	v_lshrrev_b64 v[24:25], 20, v[24:25]
	v_cmp_gt_i32_e32 vcc_lo, 16, v23
	v_and_b32_e32 v2, 0x80, v2
	v_min_i32_e32 v6, 15, v23
	v_cmp_eq_u32_e64 s0, 0, v23
	v_dual_cndmask_b32 v25, 0, v25 :: v_dual_cndmask_b32 v24, 7, v24
	s_delay_alu instid0(VALU_DEP_3) | instskip(NEXT) | instid1(VALU_DEP_2)
	v_lshl_or_b32 v2, v6, 3, v2
	v_cmp_eq_u64_e32 vcc_lo, 0, v[24:25]
	s_delay_alu instid0(VALU_DEP_2)
	v_and_or_b32 v2, v24, 7, v2
	s_and_b32 s0, s0, vcc_lo
	s_delay_alu instid0(VALU_DEP_1) | instid1(SALU_CYCLE_1)
	v_cndmask_b32_e64 v24, v2, 0, s0
.LBB1_53:                               ;   in Loop: Header=BB1_29 Depth=2
	s_or_b32 exec_lo, exec_lo, s35
                                        ; implicit-def: $vgpr2
.LBB1_54:                               ;   in Loop: Header=BB1_29 Depth=2
	s_and_not1_saveexec_b32 s0, s34
; %bb.55:                               ;   in Loop: Header=BB1_29 Depth=2
	v_or_b32_e32 v24, 0x7f, v2
; %bb.56:                               ;   in Loop: Header=BB1_29 Depth=2
	s_or_b32 exec_lo, exec_lo, s0
.LBB1_57:                               ;   in Loop: Header=BB1_29 Depth=2
	s_delay_alu instid0(SALU_CYCLE_1) | instskip(SKIP_3) | instid1(VALU_DEP_2)
	s_or_b32 exec_lo, exec_lo, s29
	v_lshlrev_b32_e32 v2, 16, v3
	v_mov_b64_e32 v[28:29], 0x80
	s_mov_b32 s29, exec_lo
	v_div_scale_f32 v6, null, s10, s10, v2
	v_div_scale_f32 v26, vcc_lo, v2, s10, v2
	s_delay_alu instid0(VALU_DEP_2) | instskip(SKIP_1) | instid1(TRANS32_DEP_1)
	v_rcp_f32_e32 v23, v6
	v_nop
	v_fma_f32 v25, -v6, v23, 1.0
	s_delay_alu instid0(VALU_DEP_1) | instskip(NEXT) | instid1(VALU_DEP_1)
	v_fmac_f32_e32 v23, v25, v23
	v_mul_f32_e32 v25, v26, v23
	s_delay_alu instid0(VALU_DEP_1) | instskip(NEXT) | instid1(VALU_DEP_1)
	v_fma_f32 v27, -v6, v25, v26
	v_fmac_f32_e32 v25, v27, v23
	s_delay_alu instid0(VALU_DEP_1) | instskip(SKIP_1) | instid1(VALU_DEP_2)
	v_fma_f32 v6, -v6, v25, v26
	v_mov_b64_e32 v[26:27], 0x80
	v_div_fmas_f32 v6, v6, v23, v25
	s_delay_alu instid0(VALU_DEP_1) | instskip(NEXT) | instid1(VALU_DEP_1)
	v_div_fixup_f32 v23, v6, s10, v2
	v_and_b32_e32 v6, 0x7f800000, v23
	s_delay_alu instid0(VALU_DEP_1)
	v_cmpx_ne_u64_e32 0x7f800000, v[6:7]
	s_cbranch_execz .LBB1_71
; %bb.58:                               ;   in Loop: Header=BB1_29 Depth=2
	v_and_b32_e32 v6, 0x7fffffff, v23
	v_lshrrev_b32_e32 v2, 24, v23
                                        ; implicit-def: $vgpr28_vgpr29
	s_mov_b32 s0, exec_lo
	s_delay_alu instid0(VALU_DEP_2)
	v_cmpx_gt_u64_e32 0x43700001, v[6:7]
	s_xor_b32 s34, exec_lo, s0
	s_cbranch_execz .LBB1_68
; %bb.59:                               ;   in Loop: Header=BB1_29 Depth=2
	v_mov_b64_e32 v[28:29], 0
	s_mov_b32 s35, exec_lo
	v_cmpx_ne_u32_e32 0, v23
	s_cbranch_execz .LBB1_67
; %bb.60:                               ;   in Loop: Header=BB1_29 Depth=2
	v_bfe_u32 v25, v23, 23, 8
	s_delay_alu instid0(VALU_DEP_1) | instskip(SKIP_1) | instid1(VALU_DEP_2)
	v_sub_nc_u32_e32 v6, 0x78, v25
	v_cmp_gt_u32_e32 vcc_lo, 0x79, v25
	v_cndmask_b32_e32 v6, 0, v6, vcc_lo
	v_cmp_eq_u32_e32 vcc_lo, 0, v25
	s_delay_alu instid0(VALU_DEP_2) | instskip(SKIP_1) | instid1(VALU_DEP_2)
	v_cndmask_b32_e64 v27, v6, 0x77, vcc_lo
	v_and_b32_e32 v6, 0x7fffff, v23
	v_add_nc_u32_e32 v23, 20, v27
	s_delay_alu instid0(VALU_DEP_2) | instskip(NEXT) | instid1(VALU_DEP_2)
	v_or_b32_e32 v30, 0x800000, v6
	v_lshlrev_b64_e64 v[28:29], v23, -1
	s_delay_alu instid0(VALU_DEP_2) | instskip(NEXT) | instid1(VALU_DEP_1)
	v_dual_cndmask_b32 v6, v30, v6 :: v_dual_add_nc_u32 v23, 19, v27
	v_lshlrev_b64_e64 v[30:31], v23, 1
	s_delay_alu instid0(VALU_DEP_3) | instskip(NEXT) | instid1(VALU_DEP_3)
	v_bfi_b32 v33, v29, 0, 0
	v_bfi_b32 v32, v28, 0, v6
	v_lshrrev_b64 v[28:29], v27, v[6:7]
	s_delay_alu instid0(VALU_DEP_2) | instskip(NEXT) | instid1(VALU_DEP_2)
	v_cmp_eq_u64_e64 s0, v[32:33], v[30:31]
	v_mov_b64_e32 v[30:31], v[28:29]
	s_and_saveexec_b32 s36, s0
; %bb.61:                               ;   in Loop: Header=BB1_29 Depth=2
	v_bfe_u32 v6, v28, 20, 1
	s_delay_alu instid0(VALU_DEP_1) | instskip(NEXT) | instid1(VALU_DEP_1)
	v_add_nc_u64_e32 v[30:31], v[28:29], v[6:7]
	v_add_nc_u64_e32 v[30:31], -1, v[30:31]
; %bb.62:                               ;   in Loop: Header=BB1_29 Depth=2
	s_or_b32 exec_lo, exec_lo, s36
	v_add_nc_u32_e32 v6, 0xffffff81, v25
	v_lshrrev_b32_e32 v23, 23, v28
	s_mov_b32 s0, exec_lo
	s_delay_alu instid0(VALU_DEP_2) | instskip(NEXT) | instid1(VALU_DEP_1)
	v_cndmask_b32_e64 v6, v6, 0xffffff82, vcc_lo
	v_add3_u32 v25, v27, v6, v23
	v_and_b32_e32 v6, 0xfffff, v30
                                        ; implicit-def: $vgpr23
	s_delay_alu instid0(VALU_DEP_1) | instskip(NEXT) | instid1(VALU_DEP_1)
	v_dual_add_nc_u32 v27, 7, v25 :: v_dual_add_nc_u32 v6, v6, v28
                                        ; implicit-def: $vgpr28_vgpr29
	v_cmpx_ne_u32_e32 0, v27
	s_xor_b32 s0, exec_lo, s0
; %bb.63:                               ;   in Loop: Header=BB1_29 Depth=2
	s_delay_alu instid0(VALU_DEP_2) | instskip(SKIP_2) | instid1(VALU_DEP_2)
	v_cmp_lt_u64_e32 vcc_lo, 0xffffff, v[6:7]
	v_add_nc_u32_e32 v23, 8, v25
	v_cndmask_b32_e64 v25, 0, 1, vcc_lo
	v_cndmask_b32_e32 v23, v27, v23, vcc_lo
	s_delay_alu instid0(VALU_DEP_2)
	v_lshrrev_b64 v[28:29], v25, v[6:7]
; %bb.64:                               ;   in Loop: Header=BB1_29 Depth=2
	s_and_not1_saveexec_b32 s0, s0
; %bb.65:                               ;   in Loop: Header=BB1_29 Depth=2
	v_mov_b64_e32 v[28:29], v[6:7]
	v_bfe_u32 v23, v6, 23, 1
; %bb.66:                               ;   in Loop: Header=BB1_29 Depth=2
	s_or_b32 exec_lo, exec_lo, s0
	s_delay_alu instid0(VALU_DEP_2) | instskip(NEXT) | instid1(VALU_DEP_2)
	v_lshrrev_b64 v[28:29], 20, v[28:29]
	v_cmp_gt_i32_e32 vcc_lo, 16, v23
	v_and_b32_e32 v2, 0x80, v2
	v_min_i32_e32 v6, 15, v23
	v_cmp_eq_u32_e64 s0, 0, v23
	v_dual_cndmask_b32 v29, 0, v29 :: v_dual_cndmask_b32 v28, 7, v28
	s_delay_alu instid0(VALU_DEP_3) | instskip(NEXT) | instid1(VALU_DEP_2)
	v_lshl_or_b32 v2, v6, 3, v2
	v_cmp_eq_u64_e32 vcc_lo, 0, v[28:29]
	s_delay_alu instid0(VALU_DEP_2)
	v_and_or_b32 v2, v28, 7, v2
	s_and_b32 s0, s0, vcc_lo
	s_delay_alu instid0(VALU_DEP_1) | instid1(SALU_CYCLE_1)
	v_cndmask_b32_e64 v28, v2, 0, s0
.LBB1_67:                               ;   in Loop: Header=BB1_29 Depth=2
	s_or_b32 exec_lo, exec_lo, s35
                                        ; implicit-def: $vgpr2
.LBB1_68:                               ;   in Loop: Header=BB1_29 Depth=2
	s_and_not1_saveexec_b32 s0, s34
; %bb.69:                               ;   in Loop: Header=BB1_29 Depth=2
	v_or_b32_e32 v28, 0x7f, v2
; %bb.70:                               ;   in Loop: Header=BB1_29 Depth=2
	s_or_b32 exec_lo, exec_lo, s0
.LBB1_71:                               ;   in Loop: Header=BB1_29 Depth=2
	s_delay_alu instid0(SALU_CYCLE_1) | instskip(SKIP_2) | instid1(VALU_DEP_1)
	s_or_b32 exec_lo, exec_lo, s29
	v_and_b32_e32 v2, 0xffff0000, v3
	s_mov_b32 s29, exec_lo
	v_div_scale_f32 v3, null, s10, s10, v2
	s_delay_alu instid0(VALU_DEP_1) | instskip(SKIP_1) | instid1(TRANS32_DEP_1)
	v_rcp_f32_e32 v6, v3
	v_nop
	v_fma_f32 v23, -v3, v6, 1.0
	s_delay_alu instid0(VALU_DEP_1) | instskip(SKIP_1) | instid1(VALU_DEP_1)
	v_fmac_f32_e32 v6, v23, v6
	v_div_scale_f32 v23, vcc_lo, v2, s10, v2
	v_mul_f32_e32 v25, v23, v6
	s_delay_alu instid0(VALU_DEP_1) | instskip(NEXT) | instid1(VALU_DEP_1)
	v_fma_f32 v27, -v3, v25, v23
	v_fmac_f32_e32 v25, v27, v6
	s_delay_alu instid0(VALU_DEP_1) | instskip(NEXT) | instid1(VALU_DEP_1)
	v_fma_f32 v3, -v3, v25, v23
	v_div_fmas_f32 v3, v3, v6, v25
	s_delay_alu instid0(VALU_DEP_1) | instskip(NEXT) | instid1(VALU_DEP_1)
	v_div_fixup_f32 v2, v3, s10, v2
	v_and_b32_e32 v6, 0x7f800000, v2
	s_delay_alu instid0(VALU_DEP_1)
	v_cmpx_ne_u64_e32 0x7f800000, v[6:7]
	s_cbranch_execz .LBB1_85
; %bb.72:                               ;   in Loop: Header=BB1_29 Depth=2
	v_and_b32_e32 v6, 0x7fffffff, v2
	v_lshrrev_b32_e32 v23, 24, v2
                                        ; implicit-def: $vgpr26_vgpr27
	s_mov_b32 s0, exec_lo
	s_delay_alu instid0(VALU_DEP_2)
	v_cmpx_gt_u64_e32 0x43700001, v[6:7]
	s_xor_b32 s34, exec_lo, s0
	s_cbranch_execz .LBB1_82
; %bb.73:                               ;   in Loop: Header=BB1_29 Depth=2
	v_mov_b64_e32 v[26:27], 0
	s_mov_b32 s35, exec_lo
	v_cmpx_ne_u32_e32 0, v2
	s_cbranch_execz .LBB1_81
; %bb.74:                               ;   in Loop: Header=BB1_29 Depth=2
	v_bfe_u32 v25, v2, 23, 8
	v_and_b32_e32 v6, 0x7fffff, v2
	s_delay_alu instid0(VALU_DEP_2) | instskip(NEXT) | instid1(VALU_DEP_2)
	v_cmp_gt_u32_e32 vcc_lo, 0x79, v25
	v_or_b32_e32 v26, 0x800000, v6
	v_sub_nc_u32_e32 v3, 0x78, v25
	s_delay_alu instid0(VALU_DEP_1) | instskip(SKIP_1) | instid1(VALU_DEP_2)
	v_cndmask_b32_e32 v3, 0, v3, vcc_lo
	v_cmp_eq_u32_e32 vcc_lo, 0, v25
	v_cndmask_b32_e64 v29, v3, 0x77, vcc_lo
	s_delay_alu instid0(VALU_DEP_1) | instskip(SKIP_1) | instid1(VALU_DEP_2)
	v_dual_cndmask_b32 v6, v26, v6, vcc_lo :: v_dual_add_nc_u32 v2, 20, v29
	v_add_nc_u32_e32 v27, 19, v29
	v_lshlrev_b64_e64 v[2:3], v2, -1
	s_delay_alu instid0(VALU_DEP_2) | instskip(NEXT) | instid1(VALU_DEP_2)
	v_lshlrev_b64_e64 v[26:27], v27, 1
	v_bfi_b32 v31, v3, 0, 0
	s_delay_alu instid0(VALU_DEP_3) | instskip(SKIP_1) | instid1(VALU_DEP_2)
	v_bfi_b32 v30, v2, 0, v6
	v_lshrrev_b64 v[2:3], v29, v[6:7]
	v_cmp_eq_u64_e64 s0, v[30:31], v[26:27]
	s_delay_alu instid0(VALU_DEP_2)
	v_mov_b64_e32 v[26:27], v[2:3]
	s_and_saveexec_b32 s36, s0
; %bb.75:                               ;   in Loop: Header=BB1_29 Depth=2
	v_bfe_u32 v6, v2, 20, 1
	s_delay_alu instid0(VALU_DEP_1) | instskip(NEXT) | instid1(VALU_DEP_1)
	v_add_nc_u64_e32 v[26:27], v[2:3], v[6:7]
	v_add_nc_u64_e32 v[26:27], -1, v[26:27]
; %bb.76:                               ;   in Loop: Header=BB1_29 Depth=2
	s_or_b32 exec_lo, exec_lo, s36
	v_add_nc_u32_e32 v3, 0xffffff81, v25
	v_lshrrev_b32_e32 v6, 23, v2
	s_mov_b32 s0, exec_lo
                                        ; implicit-def: $vgpr25
	s_delay_alu instid0(VALU_DEP_2) | instskip(NEXT) | instid1(VALU_DEP_1)
	v_cndmask_b32_e64 v3, v3, 0xffffff82, vcc_lo
	v_add3_u32 v27, v29, v3, v6
	v_and_b32_e32 v3, 0xfffff, v26
	s_delay_alu instid0(VALU_DEP_1) | instskip(NEXT) | instid1(VALU_DEP_1)
	v_dual_add_nc_u32 v26, 7, v27 :: v_dual_add_nc_u32 v6, v3, v2
                                        ; implicit-def: $vgpr2_vgpr3
	v_cmpx_ne_u32_e32 0, v26
	s_xor_b32 s0, exec_lo, s0
; %bb.77:                               ;   in Loop: Header=BB1_29 Depth=2
	s_delay_alu instid0(VALU_DEP_2) | instskip(SKIP_1) | instid1(VALU_DEP_1)
	v_cmp_lt_u64_e32 vcc_lo, 0xffffff, v[6:7]
	v_add_nc_u32_e32 v2, 8, v27
	v_cndmask_b32_e32 v25, v26, v2, vcc_lo
	v_cndmask_b32_e64 v2, 0, 1, vcc_lo
	s_delay_alu instid0(VALU_DEP_1)
	v_lshrrev_b64 v[2:3], v2, v[6:7]
; %bb.78:                               ;   in Loop: Header=BB1_29 Depth=2
	s_and_not1_saveexec_b32 s0, s0
; %bb.79:                               ;   in Loop: Header=BB1_29 Depth=2
	v_mov_b64_e32 v[2:3], v[6:7]
	v_bfe_u32 v25, v6, 23, 1
; %bb.80:                               ;   in Loop: Header=BB1_29 Depth=2
	s_or_b32 exec_lo, exec_lo, s0
	s_delay_alu instid0(VALU_DEP_2) | instskip(NEXT) | instid1(VALU_DEP_2)
	v_lshrrev_b64 v[2:3], 20, v[2:3]
	v_cmp_gt_i32_e32 vcc_lo, 16, v25
	v_and_b32_e32 v6, 0x80, v23
	v_min_i32_e32 v23, 15, v25
	v_cmp_eq_u32_e64 s0, 0, v25
	v_dual_cndmask_b32 v3, 0, v3 :: v_dual_cndmask_b32 v2, 7, v2
	s_delay_alu instid0(VALU_DEP_3) | instskip(NEXT) | instid1(VALU_DEP_2)
	v_lshl_or_b32 v6, v23, 3, v6
	v_cmp_eq_u64_e32 vcc_lo, 0, v[2:3]
	s_delay_alu instid0(VALU_DEP_2)
	v_and_or_b32 v2, v2, 7, v6
	s_and_b32 s0, s0, vcc_lo
	s_delay_alu instid0(VALU_DEP_1) | instid1(SALU_CYCLE_1)
	v_cndmask_b32_e64 v26, v2, 0, s0
.LBB1_81:                               ;   in Loop: Header=BB1_29 Depth=2
	s_or_b32 exec_lo, exec_lo, s35
                                        ; implicit-def: $vgpr23
.LBB1_82:                               ;   in Loop: Header=BB1_29 Depth=2
	s_and_not1_saveexec_b32 s0, s34
; %bb.83:                               ;   in Loop: Header=BB1_29 Depth=2
	v_or_b32_e32 v26, 0x7f, v23
; %bb.84:                               ;   in Loop: Header=BB1_29 Depth=2
	s_or_b32 exec_lo, exec_lo, s0
.LBB1_85:                               ;   in Loop: Header=BB1_29 Depth=2
	s_delay_alu instid0(SALU_CYCLE_1) | instskip(SKIP_3) | instid1(VALU_DEP_2)
	s_or_b32 exec_lo, exec_lo, s29
	v_lshlrev_b32_e32 v2, 16, v4
	v_mov_b64_e32 v[30:31], 0x80
	s_mov_b32 s29, exec_lo
	v_div_scale_f32 v3, null, s10, s10, v2
	s_delay_alu instid0(VALU_DEP_1) | instskip(SKIP_1) | instid1(TRANS32_DEP_1)
	v_rcp_f32_e32 v6, v3
	v_nop
	v_fma_f32 v23, -v3, v6, 1.0
	s_delay_alu instid0(VALU_DEP_1) | instskip(SKIP_1) | instid1(VALU_DEP_1)
	v_fmac_f32_e32 v6, v23, v6
	v_div_scale_f32 v25, vcc_lo, v2, s10, v2
	v_mul_f32_e32 v23, v25, v6
	s_delay_alu instid0(VALU_DEP_1) | instskip(NEXT) | instid1(VALU_DEP_1)
	v_fma_f32 v27, -v3, v23, v25
	v_fmac_f32_e32 v23, v27, v6
	s_delay_alu instid0(VALU_DEP_1) | instskip(NEXT) | instid1(VALU_DEP_1)
	v_fma_f32 v3, -v3, v23, v25
	v_div_fmas_f32 v3, v3, v6, v23
	s_delay_alu instid0(VALU_DEP_1) | instskip(SKIP_1) | instid1(VALU_DEP_2)
	v_div_fixup_f32 v25, v3, s10, v2
	v_mov_b64_e32 v[2:3], 0x80
	v_and_b32_e32 v6, 0x7f800000, v25
	s_delay_alu instid0(VALU_DEP_1)
	v_cmpx_ne_u64_e32 0x7f800000, v[6:7]
	s_cbranch_execz .LBB1_99
; %bb.86:                               ;   in Loop: Header=BB1_29 Depth=2
	v_and_b32_e32 v6, 0x7fffffff, v25
	v_lshrrev_b32_e32 v23, 24, v25
                                        ; implicit-def: $vgpr2_vgpr3
	s_mov_b32 s0, exec_lo
	s_delay_alu instid0(VALU_DEP_2)
	v_cmpx_gt_u64_e32 0x43700001, v[6:7]
	s_xor_b32 s34, exec_lo, s0
	s_cbranch_execz .LBB1_96
; %bb.87:                               ;   in Loop: Header=BB1_29 Depth=2
	v_mov_b64_e32 v[2:3], 0
	s_mov_b32 s35, exec_lo
	v_cmpx_ne_u32_e32 0, v25
	s_cbranch_execz .LBB1_95
; %bb.88:                               ;   in Loop: Header=BB1_29 Depth=2
	v_bfe_u32 v27, v25, 23, 8
	v_and_b32_e32 v6, 0x7fffff, v25
	s_delay_alu instid0(VALU_DEP_2) | instskip(SKIP_1) | instid1(VALU_DEP_3)
	v_sub_nc_u32_e32 v2, 0x78, v27
	v_cmp_gt_u32_e32 vcc_lo, 0x79, v27
	v_or_b32_e32 v25, 0x800000, v6
	s_delay_alu instid0(VALU_DEP_3) | instskip(SKIP_1) | instid1(VALU_DEP_2)
	v_cndmask_b32_e32 v2, 0, v2, vcc_lo
	v_cmp_eq_u32_e32 vcc_lo, 0, v27
	v_cndmask_b32_e64 v29, v2, 0x77, vcc_lo
	s_delay_alu instid0(VALU_DEP_1) | instskip(SKIP_1) | instid1(VALU_DEP_2)
	v_dual_cndmask_b32 v6, v25, v6, vcc_lo :: v_dual_add_nc_u32 v2, 20, v29
	v_add_nc_u32_e32 v31, 19, v29
	v_lshlrev_b64_e64 v[2:3], v2, -1
	s_delay_alu instid0(VALU_DEP_2) | instskip(NEXT) | instid1(VALU_DEP_2)
	v_lshlrev_b64_e64 v[32:33], v31, 1
	v_bfi_b32 v35, v3, 0, 0
	s_delay_alu instid0(VALU_DEP_3) | instskip(SKIP_1) | instid1(VALU_DEP_2)
	v_bfi_b32 v34, v2, 0, v6
	v_lshrrev_b64 v[2:3], v29, v[6:7]
	v_cmp_eq_u64_e64 s0, v[34:35], v[32:33]
	s_delay_alu instid0(VALU_DEP_2)
	v_mov_b64_e32 v[32:33], v[2:3]
	s_and_saveexec_b32 s36, s0
; %bb.89:                               ;   in Loop: Header=BB1_29 Depth=2
	v_bfe_u32 v6, v2, 20, 1
	s_delay_alu instid0(VALU_DEP_1) | instskip(NEXT) | instid1(VALU_DEP_1)
	v_add_nc_u64_e32 v[32:33], v[2:3], v[6:7]
	v_add_nc_u64_e32 v[32:33], -1, v[32:33]
; %bb.90:                               ;   in Loop: Header=BB1_29 Depth=2
	s_or_b32 exec_lo, exec_lo, s36
	v_add_nc_u32_e32 v3, 0xffffff81, v27
	v_lshrrev_b32_e32 v6, 23, v2
	s_mov_b32 s0, exec_lo
                                        ; implicit-def: $vgpr25
	s_delay_alu instid0(VALU_DEP_2) | instskip(NEXT) | instid1(VALU_DEP_1)
	v_cndmask_b32_e64 v3, v3, 0xffffff82, vcc_lo
	v_add3_u32 v27, v29, v3, v6
	v_and_b32_e32 v3, 0xfffff, v32
	s_delay_alu instid0(VALU_DEP_1) | instskip(NEXT) | instid1(VALU_DEP_1)
	v_dual_add_nc_u32 v29, 7, v27 :: v_dual_add_nc_u32 v6, v3, v2
                                        ; implicit-def: $vgpr2_vgpr3
	v_cmpx_ne_u32_e32 0, v29
	s_xor_b32 s0, exec_lo, s0
; %bb.91:                               ;   in Loop: Header=BB1_29 Depth=2
	s_delay_alu instid0(VALU_DEP_2) | instskip(SKIP_1) | instid1(VALU_DEP_1)
	v_cmp_lt_u64_e32 vcc_lo, 0xffffff, v[6:7]
	v_add_nc_u32_e32 v2, 8, v27
	v_cndmask_b32_e32 v25, v29, v2, vcc_lo
	v_cndmask_b32_e64 v2, 0, 1, vcc_lo
	s_delay_alu instid0(VALU_DEP_1)
	v_lshrrev_b64 v[2:3], v2, v[6:7]
; %bb.92:                               ;   in Loop: Header=BB1_29 Depth=2
	s_and_not1_saveexec_b32 s0, s0
; %bb.93:                               ;   in Loop: Header=BB1_29 Depth=2
	v_mov_b64_e32 v[2:3], v[6:7]
	v_bfe_u32 v25, v6, 23, 1
; %bb.94:                               ;   in Loop: Header=BB1_29 Depth=2
	s_or_b32 exec_lo, exec_lo, s0
	s_delay_alu instid0(VALU_DEP_2) | instskip(NEXT) | instid1(VALU_DEP_2)
	v_lshrrev_b64 v[2:3], 20, v[2:3]
	v_cmp_gt_i32_e32 vcc_lo, 16, v25
	v_and_b32_e32 v6, 0x80, v23
	v_min_i32_e32 v23, 15, v25
	v_cmp_eq_u32_e64 s0, 0, v25
	v_dual_cndmask_b32 v3, 0, v3 :: v_dual_cndmask_b32 v2, 7, v2
	s_delay_alu instid0(VALU_DEP_3) | instskip(NEXT) | instid1(VALU_DEP_2)
	v_lshl_or_b32 v6, v23, 3, v6
	v_cmp_eq_u64_e32 vcc_lo, 0, v[2:3]
	s_delay_alu instid0(VALU_DEP_2)
	v_and_or_b32 v2, v2, 7, v6
	s_and_b32 s0, s0, vcc_lo
	s_delay_alu instid0(VALU_DEP_1) | instid1(SALU_CYCLE_1)
	v_cndmask_b32_e64 v2, v2, 0, s0
.LBB1_95:                               ;   in Loop: Header=BB1_29 Depth=2
	s_or_b32 exec_lo, exec_lo, s35
                                        ; implicit-def: $vgpr23
.LBB1_96:                               ;   in Loop: Header=BB1_29 Depth=2
	s_and_not1_saveexec_b32 s0, s34
; %bb.97:                               ;   in Loop: Header=BB1_29 Depth=2
	v_or_b32_e32 v2, 0x7f, v23
; %bb.98:                               ;   in Loop: Header=BB1_29 Depth=2
	s_or_b32 exec_lo, exec_lo, s0
.LBB1_99:                               ;   in Loop: Header=BB1_29 Depth=2
	s_delay_alu instid0(SALU_CYCLE_1) | instskip(SKIP_2) | instid1(VALU_DEP_1)
	s_or_b32 exec_lo, exec_lo, s29
	v_and_b32_e32 v3, 0xffff0000, v4
	s_mov_b32 s29, exec_lo
	v_div_scale_f32 v4, null, s10, s10, v3
	s_delay_alu instid0(VALU_DEP_1) | instskip(SKIP_1) | instid1(TRANS32_DEP_1)
	v_rcp_f32_e32 v6, v4
	v_nop
	v_fma_f32 v23, -v4, v6, 1.0
	s_delay_alu instid0(VALU_DEP_1) | instskip(SKIP_1) | instid1(VALU_DEP_1)
	v_fmac_f32_e32 v6, v23, v6
	v_div_scale_f32 v23, vcc_lo, v3, s10, v3
	v_mul_f32_e32 v25, v23, v6
	s_delay_alu instid0(VALU_DEP_1) | instskip(NEXT) | instid1(VALU_DEP_1)
	v_fma_f32 v27, -v4, v25, v23
	v_fmac_f32_e32 v25, v27, v6
	s_delay_alu instid0(VALU_DEP_1) | instskip(NEXT) | instid1(VALU_DEP_1)
	v_fma_f32 v4, -v4, v25, v23
	v_div_fmas_f32 v4, v4, v6, v25
	s_delay_alu instid0(VALU_DEP_1) | instskip(NEXT) | instid1(VALU_DEP_1)
	v_div_fixup_f32 v4, v4, s10, v3
	v_and_b32_e32 v6, 0x7f800000, v4
	s_delay_alu instid0(VALU_DEP_1)
	v_cmpx_ne_u64_e32 0x7f800000, v[6:7]
	s_cbranch_execz .LBB1_113
; %bb.100:                              ;   in Loop: Header=BB1_29 Depth=2
	v_and_b32_e32 v6, 0x7fffffff, v4
	v_lshrrev_b32_e32 v3, 24, v4
                                        ; implicit-def: $vgpr30_vgpr31
	s_mov_b32 s0, exec_lo
	s_delay_alu instid0(VALU_DEP_2)
	v_cmpx_gt_u64_e32 0x43700001, v[6:7]
	s_xor_b32 s34, exec_lo, s0
	s_cbranch_execz .LBB1_110
; %bb.101:                              ;   in Loop: Header=BB1_29 Depth=2
	v_mov_b64_e32 v[30:31], 0
	s_mov_b32 s35, exec_lo
	v_cmpx_ne_u32_e32 0, v4
	s_cbranch_execz .LBB1_109
; %bb.102:                              ;   in Loop: Header=BB1_29 Depth=2
	v_bfe_u32 v23, v4, 23, 8
	v_and_b32_e32 v4, 0x7fffff, v4
	s_delay_alu instid0(VALU_DEP_2) | instskip(SKIP_1) | instid1(VALU_DEP_3)
	v_sub_nc_u32_e32 v6, 0x78, v23
	v_cmp_gt_u32_e32 vcc_lo, 0x79, v23
	v_or_b32_e32 v27, 0x800000, v4
	s_delay_alu instid0(VALU_DEP_3) | instskip(SKIP_1) | instid1(VALU_DEP_2)
	v_cndmask_b32_e32 v6, 0, v6, vcc_lo
	v_cmp_eq_u32_e32 vcc_lo, 0, v23
	v_cndmask_b32_e64 v25, v6, 0x77, vcc_lo
	s_delay_alu instid0(VALU_DEP_1) | instskip(NEXT) | instid1(VALU_DEP_1)
	v_dual_add_nc_u32 v6, 20, v25 :: v_dual_add_nc_u32 v29, 19, v25
	v_lshlrev_b64_e64 v[30:31], v6, -1
	v_cndmask_b32_e32 v6, v27, v4, vcc_lo
	s_delay_alu instid0(VALU_DEP_3) | instskip(NEXT) | instid1(VALU_DEP_3)
	v_lshlrev_b64_e64 v[32:33], v29, 1
	v_bfi_b32 v35, v31, 0, 0
	s_delay_alu instid0(VALU_DEP_3) | instskip(SKIP_1) | instid1(VALU_DEP_2)
	v_bfi_b32 v34, v30, 0, v6
	v_lshrrev_b64 v[30:31], v25, v[6:7]
	v_cmp_eq_u64_e64 s0, v[34:35], v[32:33]
	s_delay_alu instid0(VALU_DEP_2)
	v_mov_b64_e32 v[32:33], v[30:31]
	s_and_saveexec_b32 s36, s0
; %bb.103:                              ;   in Loop: Header=BB1_29 Depth=2
	v_bfe_u32 v6, v30, 20, 1
	s_delay_alu instid0(VALU_DEP_1) | instskip(NEXT) | instid1(VALU_DEP_1)
	v_add_nc_u64_e32 v[32:33], v[30:31], v[6:7]
	v_add_nc_u64_e32 v[32:33], -1, v[32:33]
; %bb.104:                              ;   in Loop: Header=BB1_29 Depth=2
	s_or_b32 exec_lo, exec_lo, s36
	v_add_nc_u32_e32 v4, 0xffffff81, v23
	v_lshrrev_b32_e32 v6, 23, v30
	s_mov_b32 s0, exec_lo
	s_delay_alu instid0(VALU_DEP_2) | instskip(NEXT) | instid1(VALU_DEP_1)
	v_cndmask_b32_e64 v4, v4, 0xffffff82, vcc_lo
	v_add3_u32 v23, v25, v4, v6
	v_and_b32_e32 v4, 0xfffff, v32
	s_delay_alu instid0(VALU_DEP_1) | instskip(NEXT) | instid1(VALU_DEP_1)
	v_dual_add_nc_u32 v25, 7, v23 :: v_dual_add_nc_u32 v6, v4, v30
                                        ; implicit-def: $vgpr30_vgpr31
                                        ; implicit-def: $vgpr4
	v_cmpx_ne_u32_e32 0, v25
	s_xor_b32 s0, exec_lo, s0
; %bb.105:                              ;   in Loop: Header=BB1_29 Depth=2
	s_delay_alu instid0(VALU_DEP_2) | instskip(SKIP_2) | instid1(VALU_DEP_2)
	v_cmp_lt_u64_e32 vcc_lo, 0xffffff, v[6:7]
	v_add_nc_u32_e32 v4, 8, v23
	v_cndmask_b32_e64 v23, 0, 1, vcc_lo
	v_cndmask_b32_e32 v4, v25, v4, vcc_lo
	s_delay_alu instid0(VALU_DEP_2)
	v_lshrrev_b64 v[30:31], v23, v[6:7]
; %bb.106:                              ;   in Loop: Header=BB1_29 Depth=2
	s_and_not1_saveexec_b32 s0, s0
; %bb.107:                              ;   in Loop: Header=BB1_29 Depth=2
	v_mov_b64_e32 v[30:31], v[6:7]
	v_bfe_u32 v4, v6, 23, 1
; %bb.108:                              ;   in Loop: Header=BB1_29 Depth=2
	s_or_b32 exec_lo, exec_lo, s0
	s_delay_alu instid0(VALU_DEP_2) | instskip(NEXT) | instid1(VALU_DEP_2)
	v_lshrrev_b64 v[30:31], 20, v[30:31]
	v_cmp_gt_i32_e32 vcc_lo, 16, v4
	v_and_b32_e32 v3, 0x80, v3
	v_min_i32_e32 v6, 15, v4
	v_cmp_eq_u32_e64 s0, 0, v4
	v_dual_cndmask_b32 v31, 0, v31 :: v_dual_cndmask_b32 v30, 7, v30
	s_delay_alu instid0(VALU_DEP_3) | instskip(NEXT) | instid1(VALU_DEP_2)
	v_lshl_or_b32 v3, v6, 3, v3
	v_cmp_eq_u64_e32 vcc_lo, 0, v[30:31]
	s_delay_alu instid0(VALU_DEP_2)
	v_and_or_b32 v3, v30, 7, v3
	s_and_b32 s0, s0, vcc_lo
	s_delay_alu instid0(VALU_DEP_1) | instid1(SALU_CYCLE_1)
	v_cndmask_b32_e64 v30, v3, 0, s0
.LBB1_109:                              ;   in Loop: Header=BB1_29 Depth=2
	s_or_b32 exec_lo, exec_lo, s35
                                        ; implicit-def: $vgpr3
.LBB1_110:                              ;   in Loop: Header=BB1_29 Depth=2
	s_and_not1_saveexec_b32 s0, s34
; %bb.111:                              ;   in Loop: Header=BB1_29 Depth=2
	v_or_b32_e32 v30, 0x7f, v3
; %bb.112:                              ;   in Loop: Header=BB1_29 Depth=2
	s_or_b32 exec_lo, exec_lo, s0
.LBB1_113:                              ;   in Loop: Header=BB1_29 Depth=2
	s_delay_alu instid0(SALU_CYCLE_1) | instskip(SKIP_4) | instid1(VALU_DEP_3)
	s_or_b32 exec_lo, exec_lo, s29
	v_lshlrev_b32_e32 v3, 16, v5
	v_mov_b64_e32 v[32:33], 0x80
	v_mov_b64_e32 v[34:35], 0x80
	s_mov_b32 s29, exec_lo
	v_div_scale_f32 v4, null, s10, s10, v3
	s_delay_alu instid0(VALU_DEP_1) | instskip(SKIP_1) | instid1(TRANS32_DEP_1)
	v_rcp_f32_e32 v6, v4
	v_nop
	v_fma_f32 v23, -v4, v6, 1.0
	s_delay_alu instid0(VALU_DEP_1) | instskip(SKIP_1) | instid1(VALU_DEP_1)
	v_fmac_f32_e32 v6, v23, v6
	v_div_scale_f32 v25, vcc_lo, v3, s10, v3
	v_mul_f32_e32 v23, v25, v6
	s_delay_alu instid0(VALU_DEP_1) | instskip(NEXT) | instid1(VALU_DEP_1)
	v_fma_f32 v27, -v4, v23, v25
	v_fmac_f32_e32 v23, v27, v6
	s_delay_alu instid0(VALU_DEP_1) | instskip(NEXT) | instid1(VALU_DEP_1)
	v_fma_f32 v4, -v4, v23, v25
	v_div_fmas_f32 v4, v4, v6, v23
	s_delay_alu instid0(VALU_DEP_1) | instskip(NEXT) | instid1(VALU_DEP_1)
	v_div_fixup_f32 v4, v4, s10, v3
	v_and_b32_e32 v6, 0x7f800000, v4
	s_delay_alu instid0(VALU_DEP_1)
	v_cmpx_ne_u64_e32 0x7f800000, v[6:7]
	s_cbranch_execz .LBB1_127
; %bb.114:                              ;   in Loop: Header=BB1_29 Depth=2
	v_and_b32_e32 v6, 0x7fffffff, v4
	v_lshrrev_b32_e32 v3, 24, v4
                                        ; implicit-def: $vgpr34_vgpr35
	s_mov_b32 s0, exec_lo
	s_delay_alu instid0(VALU_DEP_2)
	v_cmpx_gt_u64_e32 0x43700001, v[6:7]
	s_xor_b32 s34, exec_lo, s0
	s_cbranch_execz .LBB1_124
; %bb.115:                              ;   in Loop: Header=BB1_29 Depth=2
	v_mov_b64_e32 v[34:35], 0
	s_mov_b32 s35, exec_lo
	v_cmpx_ne_u32_e32 0, v4
	s_cbranch_execz .LBB1_123
; %bb.116:                              ;   in Loop: Header=BB1_29 Depth=2
	v_bfe_u32 v23, v4, 23, 8
	v_and_b32_e32 v4, 0x7fffff, v4
	s_delay_alu instid0(VALU_DEP_2) | instskip(SKIP_1) | instid1(VALU_DEP_3)
	v_sub_nc_u32_e32 v6, 0x78, v23
	v_cmp_gt_u32_e32 vcc_lo, 0x79, v23
	v_or_b32_e32 v27, 0x800000, v4
	s_delay_alu instid0(VALU_DEP_3) | instskip(SKIP_1) | instid1(VALU_DEP_2)
	v_cndmask_b32_e32 v6, 0, v6, vcc_lo
	v_cmp_eq_u32_e32 vcc_lo, 0, v23
	v_cndmask_b32_e64 v25, v6, 0x77, vcc_lo
	s_delay_alu instid0(VALU_DEP_1) | instskip(NEXT) | instid1(VALU_DEP_1)
	v_dual_add_nc_u32 v6, 20, v25 :: v_dual_add_nc_u32 v29, 19, v25
	v_lshlrev_b64_e64 v[34:35], v6, -1
	v_cndmask_b32_e32 v6, v27, v4, vcc_lo
	s_delay_alu instid0(VALU_DEP_3) | instskip(NEXT) | instid1(VALU_DEP_3)
	v_lshlrev_b64_e64 v[36:37], v29, 1
	v_bfi_b32 v41, v35, 0, 0
	s_delay_alu instid0(VALU_DEP_3) | instskip(SKIP_1) | instid1(VALU_DEP_2)
	v_bfi_b32 v40, v34, 0, v6
	v_lshrrev_b64 v[34:35], v25, v[6:7]
	v_cmp_eq_u64_e64 s0, v[40:41], v[36:37]
	s_delay_alu instid0(VALU_DEP_2)
	v_mov_b64_e32 v[36:37], v[34:35]
	s_and_saveexec_b32 s36, s0
; %bb.117:                              ;   in Loop: Header=BB1_29 Depth=2
	v_bfe_u32 v6, v34, 20, 1
	s_delay_alu instid0(VALU_DEP_1) | instskip(NEXT) | instid1(VALU_DEP_1)
	v_add_nc_u64_e32 v[36:37], v[34:35], v[6:7]
	v_add_nc_u64_e32 v[36:37], -1, v[36:37]
; %bb.118:                              ;   in Loop: Header=BB1_29 Depth=2
	s_or_b32 exec_lo, exec_lo, s36
	v_add_nc_u32_e32 v4, 0xffffff81, v23
	v_lshrrev_b32_e32 v6, 23, v34
	s_mov_b32 s0, exec_lo
	s_delay_alu instid0(VALU_DEP_2) | instskip(NEXT) | instid1(VALU_DEP_1)
	v_cndmask_b32_e64 v4, v4, 0xffffff82, vcc_lo
	v_add3_u32 v23, v25, v4, v6
	v_and_b32_e32 v4, 0xfffff, v36
	s_delay_alu instid0(VALU_DEP_1) | instskip(NEXT) | instid1(VALU_DEP_1)
	v_dual_add_nc_u32 v25, 7, v23 :: v_dual_add_nc_u32 v6, v4, v34
                                        ; implicit-def: $vgpr34_vgpr35
                                        ; implicit-def: $vgpr4
	v_cmpx_ne_u32_e32 0, v25
	s_xor_b32 s0, exec_lo, s0
; %bb.119:                              ;   in Loop: Header=BB1_29 Depth=2
	s_delay_alu instid0(VALU_DEP_2) | instskip(SKIP_2) | instid1(VALU_DEP_2)
	v_cmp_lt_u64_e32 vcc_lo, 0xffffff, v[6:7]
	v_add_nc_u32_e32 v4, 8, v23
	v_cndmask_b32_e64 v23, 0, 1, vcc_lo
	v_cndmask_b32_e32 v4, v25, v4, vcc_lo
	s_delay_alu instid0(VALU_DEP_2)
	v_lshrrev_b64 v[34:35], v23, v[6:7]
; %bb.120:                              ;   in Loop: Header=BB1_29 Depth=2
	s_and_not1_saveexec_b32 s0, s0
; %bb.121:                              ;   in Loop: Header=BB1_29 Depth=2
	v_mov_b64_e32 v[34:35], v[6:7]
	v_bfe_u32 v4, v6, 23, 1
; %bb.122:                              ;   in Loop: Header=BB1_29 Depth=2
	s_or_b32 exec_lo, exec_lo, s0
	s_delay_alu instid0(VALU_DEP_2) | instskip(NEXT) | instid1(VALU_DEP_2)
	v_lshrrev_b64 v[34:35], 20, v[34:35]
	v_cmp_gt_i32_e32 vcc_lo, 16, v4
	v_and_b32_e32 v3, 0x80, v3
	v_min_i32_e32 v6, 15, v4
	v_cmp_eq_u32_e64 s0, 0, v4
	v_dual_cndmask_b32 v35, 0, v35 :: v_dual_cndmask_b32 v34, 7, v34
	s_delay_alu instid0(VALU_DEP_3) | instskip(NEXT) | instid1(VALU_DEP_2)
	v_lshl_or_b32 v3, v6, 3, v3
	v_cmp_eq_u64_e32 vcc_lo, 0, v[34:35]
	s_delay_alu instid0(VALU_DEP_2)
	v_and_or_b32 v3, v34, 7, v3
	s_and_b32 s0, s0, vcc_lo
	s_delay_alu instid0(VALU_DEP_1) | instid1(SALU_CYCLE_1)
	v_cndmask_b32_e64 v34, v3, 0, s0
.LBB1_123:                              ;   in Loop: Header=BB1_29 Depth=2
	s_or_b32 exec_lo, exec_lo, s35
                                        ; implicit-def: $vgpr3
.LBB1_124:                              ;   in Loop: Header=BB1_29 Depth=2
	s_and_not1_saveexec_b32 s0, s34
; %bb.125:                              ;   in Loop: Header=BB1_29 Depth=2
	v_or_b32_e32 v34, 0x7f, v3
; %bb.126:                              ;   in Loop: Header=BB1_29 Depth=2
	s_or_b32 exec_lo, exec_lo, s0
.LBB1_127:                              ;   in Loop: Header=BB1_29 Depth=2
	s_delay_alu instid0(SALU_CYCLE_1) | instskip(SKIP_2) | instid1(VALU_DEP_1)
	s_or_b32 exec_lo, exec_lo, s29
	v_and_b32_e32 v3, 0xffff0000, v5
	s_mov_b32 s29, exec_lo
	v_div_scale_f32 v4, null, s10, s10, v3
	s_delay_alu instid0(VALU_DEP_1) | instskip(SKIP_1) | instid1(TRANS32_DEP_1)
	v_rcp_f32_e32 v5, v4
	v_nop
	v_fma_f32 v6, -v4, v5, 1.0
	s_delay_alu instid0(VALU_DEP_1) | instskip(SKIP_1) | instid1(VALU_DEP_1)
	v_fmac_f32_e32 v5, v6, v5
	v_div_scale_f32 v6, vcc_lo, v3, s10, v3
	v_mul_f32_e32 v23, v6, v5
	s_delay_alu instid0(VALU_DEP_1) | instskip(NEXT) | instid1(VALU_DEP_1)
	v_fma_f32 v25, -v4, v23, v6
	v_fmac_f32_e32 v23, v25, v5
	s_delay_alu instid0(VALU_DEP_1) | instskip(NEXT) | instid1(VALU_DEP_1)
	v_fma_f32 v4, -v4, v23, v6
	v_div_fmas_f32 v4, v4, v5, v23
	s_delay_alu instid0(VALU_DEP_1) | instskip(NEXT) | instid1(VALU_DEP_1)
	v_div_fixup_f32 v4, v4, s10, v3
	v_and_b32_e32 v6, 0x7f800000, v4
	s_delay_alu instid0(VALU_DEP_1)
	v_cmpx_ne_u64_e32 0x7f800000, v[6:7]
	s_cbranch_execz .LBB1_28
; %bb.128:                              ;   in Loop: Header=BB1_29 Depth=2
	v_and_b32_e32 v6, 0x7fffffff, v4
	v_lshrrev_b32_e32 v3, 24, v4
                                        ; implicit-def: $vgpr32_vgpr33
	s_mov_b32 s0, exec_lo
	s_delay_alu instid0(VALU_DEP_2)
	v_cmpx_gt_u64_e32 0x43700001, v[6:7]
	s_xor_b32 s34, exec_lo, s0
	s_cbranch_execz .LBB1_138
; %bb.129:                              ;   in Loop: Header=BB1_29 Depth=2
	v_mov_b64_e32 v[32:33], 0
	s_mov_b32 s35, exec_lo
	v_cmpx_ne_u32_e32 0, v4
	s_cbranch_execz .LBB1_137
; %bb.130:                              ;   in Loop: Header=BB1_29 Depth=2
	v_bfe_u32 v23, v4, 23, 8
	v_and_b32_e32 v6, 0x7fffff, v4
	s_delay_alu instid0(VALU_DEP_2) | instskip(NEXT) | instid1(VALU_DEP_2)
	v_cmp_gt_u32_e32 vcc_lo, 0x79, v23
	v_or_b32_e32 v27, 0x800000, v6
	v_sub_nc_u32_e32 v5, 0x78, v23
	s_delay_alu instid0(VALU_DEP_1) | instskip(SKIP_1) | instid1(VALU_DEP_2)
	v_cndmask_b32_e32 v5, 0, v5, vcc_lo
	v_cmp_eq_u32_e32 vcc_lo, 0, v23
	v_cndmask_b32_e64 v25, v5, 0x77, vcc_lo
	s_delay_alu instid0(VALU_DEP_1) | instskip(SKIP_1) | instid1(VALU_DEP_2)
	v_dual_cndmask_b32 v6, v27, v6, vcc_lo :: v_dual_add_nc_u32 v4, 20, v25
	v_add_nc_u32_e32 v29, 19, v25
	v_lshlrev_b64_e64 v[4:5], v4, -1
	s_delay_alu instid0(VALU_DEP_2) | instskip(NEXT) | instid1(VALU_DEP_2)
	v_lshlrev_b64_e64 v[32:33], v29, 1
	v_bfi_b32 v37, v5, 0, 0
	s_delay_alu instid0(VALU_DEP_3) | instskip(SKIP_1) | instid1(VALU_DEP_2)
	v_bfi_b32 v36, v4, 0, v6
	v_lshrrev_b64 v[4:5], v25, v[6:7]
	v_cmp_eq_u64_e64 s0, v[36:37], v[32:33]
	s_delay_alu instid0(VALU_DEP_2)
	v_mov_b64_e32 v[32:33], v[4:5]
	s_and_saveexec_b32 s36, s0
; %bb.131:                              ;   in Loop: Header=BB1_29 Depth=2
	v_bfe_u32 v6, v4, 20, 1
	s_delay_alu instid0(VALU_DEP_1) | instskip(NEXT) | instid1(VALU_DEP_1)
	v_add_nc_u64_e32 v[32:33], v[4:5], v[6:7]
	v_add_nc_u64_e32 v[32:33], -1, v[32:33]
; %bb.132:                              ;   in Loop: Header=BB1_29 Depth=2
	s_or_b32 exec_lo, exec_lo, s36
	v_add_nc_u32_e32 v5, 0xffffff81, v23
	v_lshrrev_b32_e32 v6, 23, v4
	s_mov_b32 s0, exec_lo
                                        ; implicit-def: $vgpr23
	s_delay_alu instid0(VALU_DEP_2) | instskip(NEXT) | instid1(VALU_DEP_1)
	v_cndmask_b32_e64 v5, v5, 0xffffff82, vcc_lo
	v_add3_u32 v25, v25, v5, v6
	v_and_b32_e32 v5, 0xfffff, v32
	s_delay_alu instid0(VALU_DEP_1) | instskip(NEXT) | instid1(VALU_DEP_1)
	v_dual_add_nc_u32 v27, 7, v25 :: v_dual_add_nc_u32 v6, v5, v4
                                        ; implicit-def: $vgpr4_vgpr5
	v_cmpx_ne_u32_e32 0, v27
	s_xor_b32 s0, exec_lo, s0
; %bb.133:                              ;   in Loop: Header=BB1_29 Depth=2
	s_delay_alu instid0(VALU_DEP_2) | instskip(SKIP_1) | instid1(VALU_DEP_1)
	v_cmp_lt_u64_e32 vcc_lo, 0xffffff, v[6:7]
	v_add_nc_u32_e32 v4, 8, v25
	v_cndmask_b32_e32 v23, v27, v4, vcc_lo
	v_cndmask_b32_e64 v4, 0, 1, vcc_lo
	s_delay_alu instid0(VALU_DEP_1)
	v_lshrrev_b64 v[4:5], v4, v[6:7]
; %bb.134:                              ;   in Loop: Header=BB1_29 Depth=2
	s_and_not1_saveexec_b32 s0, s0
; %bb.135:                              ;   in Loop: Header=BB1_29 Depth=2
	v_mov_b64_e32 v[4:5], v[6:7]
	v_bfe_u32 v23, v6, 23, 1
; %bb.136:                              ;   in Loop: Header=BB1_29 Depth=2
	s_or_b32 exec_lo, exec_lo, s0
	s_delay_alu instid0(VALU_DEP_2) | instskip(NEXT) | instid1(VALU_DEP_2)
	v_lshrrev_b64 v[4:5], 20, v[4:5]
	v_cmp_gt_i32_e32 vcc_lo, 16, v23
	v_and_b32_e32 v3, 0x80, v3
	v_min_i32_e32 v6, 15, v23
	v_cmp_eq_u32_e64 s0, 0, v23
	v_dual_cndmask_b32 v5, 0, v5 :: v_dual_cndmask_b32 v4, 7, v4
	s_delay_alu instid0(VALU_DEP_3) | instskip(NEXT) | instid1(VALU_DEP_2)
	v_lshl_or_b32 v3, v6, 3, v3
	v_cmp_eq_u64_e32 vcc_lo, 0, v[4:5]
	s_delay_alu instid0(VALU_DEP_2)
	v_and_or_b32 v3, v4, 7, v3
	s_and_b32 s0, s0, vcc_lo
	s_delay_alu instid0(VALU_DEP_1) | instid1(SALU_CYCLE_1)
	v_cndmask_b32_e64 v32, v3, 0, s0
.LBB1_137:                              ;   in Loop: Header=BB1_29 Depth=2
	s_or_b32 exec_lo, exec_lo, s35
                                        ; implicit-def: $vgpr3
.LBB1_138:                              ;   in Loop: Header=BB1_29 Depth=2
	s_and_not1_saveexec_b32 s0, s34
	s_cbranch_execz .LBB1_27
; %bb.139:                              ;   in Loop: Header=BB1_29 Depth=2
	v_or_b32_e32 v32, 0x7f, v3
	s_branch .LBB1_27
.LBB1_140:                              ;   in Loop: Header=BB1_7 Depth=1
	s_or_b32 exec_lo, exec_lo, s23
	s_delay_alu instid0(VALU_DEP_2) | instskip(SKIP_1) | instid1(VALU_DEP_1)
	v_lshlrev_b32_e32 v2, 3, v38
	s_mov_b32 s23, exec_lo
	v_cmpx_lt_i32_e64 v2, v1
	s_cbranch_execz .LBB1_157
; %bb.141:                              ;   in Loop: Header=BB1_7 Depth=1
	v_lshlrev_b64_e32 v[4:5], 1, v[10:11]
	v_add_nc_u64_e32 v[16:17], v[18:19], v[12:13]
	v_ashrrev_i32_e32 v3, 31, v2
	s_mov_b32 s28, 0
	s_delay_alu instid0(VALU_DEP_3) | instskip(NEXT) | instid1(VALU_DEP_3)
	v_lshl_add_u64 v[4:5], v[18:19], 1, v[4:5]
	v_add_nc_u64_e32 v[14:15], v[16:17], v[14:15]
	s_delay_alu instid0(VALU_DEP_2) | instskip(NEXT) | instid1(VALU_DEP_2)
	v_lshl_add_u64 v[4:5], v[8:9], 1, v[4:5]
	v_add_nc_u64_e32 v[14:15], v[14:15], v[2:3]
	s_delay_alu instid0(VALU_DEP_2) | instskip(NEXT) | instid1(VALU_DEP_2)
	v_lshl_add_u64 v[4:5], v[2:3], 1, v[4:5]
	v_add_nc_u64_e32 v[14:15], s[16:17], v[14:15]
	s_delay_alu instid0(VALU_DEP_2)
	v_add_nc_u64_e32 v[4:5], s[12:13], v[4:5]
	s_branch .LBB1_144
.LBB1_142:                              ;   in Loop: Header=BB1_144 Depth=2
	s_or_b32 exec_lo, exec_lo, s0
.LBB1_143:                              ;   in Loop: Header=BB1_144 Depth=2
	s_delay_alu instid0(SALU_CYCLE_1)
	s_or_b32 exec_lo, exec_lo, s29
	v_add_nc_u32_e32 v2, 1, v2
	global_store_b8 v[14:15], v6, off
	v_add_nc_u64_e32 v[4:5], 2, v[4:5]
	s_wait_xcnt 0x0
	v_add_nc_u64_e32 v[14:15], 1, v[14:15]
	v_cmp_ge_i32_e32 vcc_lo, v2, v1
	s_or_b32 s28, vcc_lo, s28
	s_delay_alu instid0(SALU_CYCLE_1)
	s_and_not1_b32 exec_lo, exec_lo, s28
	s_cbranch_execz .LBB1_157
.LBB1_144:                              ;   Parent Loop BB1_7 Depth=1
                                        ; =>  This Inner Loop Header: Depth=2
	global_load_u16 v3, v[4:5], off
	s_wait_loadcnt 0x0
	v_lshlrev_b32_e32 v3, 16, v3
	s_delay_alu instid0(VALU_DEP_1) | instskip(NEXT) | instid1(VALU_DEP_1)
	v_div_scale_f32 v6, null, s10, s10, v3
	v_rcp_f32_e32 v16, v6
	v_nop
	s_delay_alu instid0(TRANS32_DEP_1) | instskip(NEXT) | instid1(VALU_DEP_1)
	v_fma_f32 v17, -v6, v16, 1.0
	v_fmac_f32_e32 v16, v17, v16
	v_div_scale_f32 v17, vcc_lo, v3, s10, v3
	s_delay_alu instid0(VALU_DEP_1) | instskip(NEXT) | instid1(VALU_DEP_1)
	v_mul_f32_e32 v18, v17, v16
	v_fma_f32 v19, -v6, v18, v17
	s_delay_alu instid0(VALU_DEP_1) | instskip(NEXT) | instid1(VALU_DEP_1)
	v_fmac_f32_e32 v18, v19, v16
	v_fma_f32 v6, -v6, v18, v17
	s_delay_alu instid0(VALU_DEP_1) | instskip(NEXT) | instid1(VALU_DEP_1)
	v_div_fmas_f32 v6, v6, v16, v18
	v_div_fixup_f32 v3, v6, s10, v3
	s_delay_alu instid0(VALU_DEP_1) | instskip(NEXT) | instid1(VALU_DEP_1)
	v_and_b32_e32 v6, 0x7f800000, v3
	v_cmp_ne_u64_e32 vcc_lo, 0x7f800000, v[6:7]
	v_mov_b32_e32 v6, 0x80
	s_wait_xcnt 0x0
	s_and_saveexec_b32 s29, vcc_lo
	s_cbranch_execz .LBB1_143
; %bb.145:                              ;   in Loop: Header=BB1_144 Depth=2
	v_and_b32_e32 v6, 0x7fffffff, v3
	s_delay_alu instid0(VALU_DEP_1) | instskip(SKIP_1) | instid1(SALU_CYCLE_1)
	v_cmp_gt_u64_e32 vcc_lo, 0x43700001, v[6:7]
                                        ; implicit-def: $vgpr6
	s_and_saveexec_b32 s0, vcc_lo
	s_xor_b32 s34, exec_lo, s0
	s_cbranch_execz .LBB1_155
; %bb.146:                              ;   in Loop: Header=BB1_144 Depth=2
	v_mov_b32_e32 v6, 0
	s_mov_b32 s35, exec_lo
	v_cmpx_ne_u32_e32 0, v3
	s_cbranch_execz .LBB1_154
; %bb.147:                              ;   in Loop: Header=BB1_144 Depth=2
	v_bfe_u32 v20, v3, 23, 8
	s_delay_alu instid0(VALU_DEP_1) | instskip(SKIP_1) | instid1(VALU_DEP_2)
	v_sub_nc_u32_e32 v6, 0x78, v20
	v_cmp_gt_u32_e32 vcc_lo, 0x79, v20
	v_cndmask_b32_e32 v6, 0, v6, vcc_lo
	v_cmp_eq_u32_e32 vcc_lo, 0, v20
	s_delay_alu instid0(VALU_DEP_2) | instskip(SKIP_1) | instid1(VALU_DEP_2)
	v_cndmask_b32_e64 v21, v6, 0x77, vcc_lo
	v_and_b32_e32 v6, 0x7fffff, v3
	v_add_nc_u32_e32 v16, 20, v21
	s_delay_alu instid0(VALU_DEP_2) | instskip(SKIP_1) | instid1(VALU_DEP_3)
	v_or_b32_e32 v18, 0x800000, v6
	v_add_nc_u32_e32 v19, 19, v21
	v_lshlrev_b64_e64 v[16:17], v16, -1
	s_delay_alu instid0(VALU_DEP_3) | instskip(NEXT) | instid1(VALU_DEP_3)
	v_cndmask_b32_e32 v6, v18, v6, vcc_lo
	v_lshlrev_b64_e64 v[18:19], v19, 1
	s_delay_alu instid0(VALU_DEP_3) | instskip(NEXT) | instid1(VALU_DEP_3)
	v_bfi_b32 v23, v17, 0, 0
	v_bfi_b32 v22, v16, 0, v6
	v_lshrrev_b64 v[16:17], v21, v[6:7]
	s_delay_alu instid0(VALU_DEP_2) | instskip(NEXT) | instid1(VALU_DEP_2)
	v_cmp_eq_u64_e64 s0, v[22:23], v[18:19]
	v_mov_b64_e32 v[18:19], v[16:17]
	s_and_saveexec_b32 s36, s0
; %bb.148:                              ;   in Loop: Header=BB1_144 Depth=2
	v_bfe_u32 v6, v16, 20, 1
	s_delay_alu instid0(VALU_DEP_1) | instskip(NEXT) | instid1(VALU_DEP_1)
	v_add_nc_u64_e32 v[18:19], v[16:17], v[6:7]
	v_add_nc_u64_e32 v[18:19], -1, v[18:19]
; %bb.149:                              ;   in Loop: Header=BB1_144 Depth=2
	s_or_b32 exec_lo, exec_lo, s36
	v_add_nc_u32_e32 v6, 0xffffff81, v20
	v_lshrrev_b32_e32 v17, 23, v16
	s_mov_b32 s0, exec_lo
	s_delay_alu instid0(VALU_DEP_2) | instskip(NEXT) | instid1(VALU_DEP_1)
	v_cndmask_b32_e64 v6, v6, 0xffffff82, vcc_lo
	v_add3_u32 v19, v21, v6, v17
	v_and_b32_e32 v6, 0xfffff, v18
                                        ; implicit-def: $vgpr18
	s_delay_alu instid0(VALU_DEP_1) | instskip(NEXT) | instid1(VALU_DEP_1)
	v_dual_add_nc_u32 v20, 7, v19 :: v_dual_add_nc_u32 v6, v6, v16
                                        ; implicit-def: $vgpr16_vgpr17
	v_cmpx_ne_u32_e32 0, v20
	s_xor_b32 s0, exec_lo, s0
; %bb.150:                              ;   in Loop: Header=BB1_144 Depth=2
	s_delay_alu instid0(VALU_DEP_2) | instskip(SKIP_1) | instid1(VALU_DEP_1)
	v_cmp_lt_u64_e32 vcc_lo, 0xffffff, v[6:7]
	v_add_nc_u32_e32 v16, 8, v19
	v_cndmask_b32_e32 v18, v20, v16, vcc_lo
	v_cndmask_b32_e64 v16, 0, 1, vcc_lo
	s_delay_alu instid0(VALU_DEP_1)
	v_lshrrev_b64 v[16:17], v16, v[6:7]
; %bb.151:                              ;   in Loop: Header=BB1_144 Depth=2
	s_and_not1_saveexec_b32 s0, s0
; %bb.152:                              ;   in Loop: Header=BB1_144 Depth=2
	v_mov_b64_e32 v[16:17], v[6:7]
	v_bfe_u32 v18, v6, 23, 1
; %bb.153:                              ;   in Loop: Header=BB1_144 Depth=2
	s_or_b32 exec_lo, exec_lo, s0
	s_delay_alu instid0(VALU_DEP_2) | instskip(NEXT) | instid1(VALU_DEP_2)
	v_lshrrev_b64 v[16:17], 20, v[16:17]
	v_dual_lshrrev_b32 v3, 24, v3 :: v_dual_min_i32 v6, 15, v18
	v_cmp_gt_i32_e32 vcc_lo, 16, v18
	v_cmp_eq_u32_e64 s0, 0, v18
	s_delay_alu instid0(VALU_DEP_3) | instskip(SKIP_1) | instid1(VALU_DEP_2)
	v_and_b32_e32 v3, 0x80, v3
	v_dual_cndmask_b32 v17, 0, v17 :: v_dual_cndmask_b32 v16, 7, v16
	v_lshl_or_b32 v3, v6, 3, v3
	s_delay_alu instid0(VALU_DEP_2) | instskip(NEXT) | instid1(VALU_DEP_2)
	v_cmp_eq_u64_e32 vcc_lo, 0, v[16:17]
	v_and_or_b32 v3, v16, 7, v3
	s_and_b32 s0, s0, vcc_lo
	s_delay_alu instid0(VALU_DEP_1) | instid1(SALU_CYCLE_1)
	v_cndmask_b32_e64 v6, v3, 0, s0
.LBB1_154:                              ;   in Loop: Header=BB1_144 Depth=2
	s_or_b32 exec_lo, exec_lo, s35
                                        ; implicit-def: $vgpr3
.LBB1_155:                              ;   in Loop: Header=BB1_144 Depth=2
	s_and_not1_saveexec_b32 s0, s34
	s_cbranch_execz .LBB1_142
; %bb.156:                              ;   in Loop: Header=BB1_144 Depth=2
	v_lshrrev_b32_e32 v3, 24, v3
	s_delay_alu instid0(VALU_DEP_1)
	v_or_b32_e32 v6, 0x7f, v3
	s_branch .LBB1_142
.LBB1_157:                              ;   in Loop: Header=BB1_7 Depth=1
	s_or_b32 exec_lo, exec_lo, s23
                                        ; implicit-def: $vgpr16_vgpr17
                                        ; implicit-def: $vgpr14_vgpr15
.LBB1_158:                              ;   in Loop: Header=BB1_7 Depth=1
	s_and_not1_saveexec_b32 s22, s22
	s_cbranch_execz .LBB1_274
; %bb.159:                              ;   in Loop: Header=BB1_7 Depth=1
	s_and_not1_b32 vcc_lo, exec_lo, s26
	s_cbranch_vccnz .LBB1_274
; %bb.160:                              ;   in Loop: Header=BB1_7 Depth=1
	v_add_nc_u64_e32 v[2:3], v[12:13], v[14:15]
	s_mov_b32 s23, s31
	s_delay_alu instid0(VALU_DEP_1)
	v_add_nc_u64_e32 v[14:15], s[16:17], v[2:3]
	s_branch .LBB1_163
.LBB1_161:                              ;   in Loop: Header=BB1_163 Depth=2
	s_or_b32 exec_lo, exec_lo, s0
.LBB1_162:                              ;   in Loop: Header=BB1_163 Depth=2
	s_delay_alu instid0(SALU_CYCLE_1) | instskip(SKIP_3) | instid1(VALU_DEP_3)
	s_or_b32 exec_lo, exec_lo, s28
	v_dual_lshlrev_b32 v1, 16, v30 :: v_dual_lshlrev_b32 v3, 16, v24
	v_dual_lshlrev_b32 v4, 24, v28 :: v_dual_lshlrev_b32 v5, 8, v26
	v_and_b32_e32 v2, 0xff, v2
	v_and_b32_e32 v1, 0xff0000, v1
	v_lshlrev_b32_e32 v6, 8, v20
	v_perm_b32 v3, v22, v3, 0x4020c0c
	v_and_b32_e32 v18, 0xff, v18
	v_and_b32_e32 v5, 0xff00, v5
	v_or_b32_e32 v1, v4, v1
	v_add_nc_u64_e32 v[16:17], 16, v[16:17]
	v_and_or_b32 v4, 0xff00, v6, v3
	s_add_co_i32 s23, s23, -1
	s_delay_alu instid0(SALU_CYCLE_1) | instskip(SKIP_1) | instid1(VALU_DEP_2)
	s_cmp_eq_u32 s23, 0
	v_or3_b32 v3, v1, v5, v2
	v_or_b32_e32 v2, v4, v18
	global_store_b64 v[14:15], v[2:3], off
	s_wait_xcnt 0x0
	v_add_nc_u64_e32 v[14:15], 8, v[14:15]
	s_cbranch_scc1 .LBB1_274
.LBB1_163:                              ;   Parent Loop BB1_7 Depth=1
                                        ; =>  This Inner Loop Header: Depth=2
	global_load_b128 v[2:5], v[16:17], off
	s_mov_b32 s28, exec_lo
	s_wait_loadcnt 0x0
	v_lshlrev_b32_e32 v1, 16, v2
	s_delay_alu instid0(VALU_DEP_1) | instskip(SKIP_1) | instid1(VALU_DEP_2)
	v_div_scale_f32 v6, null, s10, s10, v1
	v_div_scale_f32 v20, vcc_lo, v1, s10, v1
	v_rcp_f32_e32 v18, v6
	v_nop
	s_delay_alu instid0(TRANS32_DEP_1) | instskip(NEXT) | instid1(VALU_DEP_1)
	v_fma_f32 v19, -v6, v18, 1.0
	v_fmac_f32_e32 v18, v19, v18
	s_delay_alu instid0(VALU_DEP_1) | instskip(NEXT) | instid1(VALU_DEP_1)
	v_mul_f32_e32 v19, v20, v18
	v_fma_f32 v21, -v6, v19, v20
	s_delay_alu instid0(VALU_DEP_1) | instskip(NEXT) | instid1(VALU_DEP_1)
	v_fmac_f32_e32 v19, v21, v18
	v_fma_f32 v6, -v6, v19, v20
	v_mov_b64_e32 v[20:21], 0x80
	s_delay_alu instid0(VALU_DEP_2) | instskip(SKIP_1) | instid1(VALU_DEP_2)
	v_div_fmas_f32 v6, v6, v18, v19
	v_mov_b64_e32 v[18:19], 0x80
	v_div_fixup_f32 v22, v6, s10, v1
	s_delay_alu instid0(VALU_DEP_1) | instskip(SKIP_1) | instid1(VALU_DEP_1)
	v_and_b32_e32 v6, 0x7f800000, v22
	s_wait_xcnt 0x0
	v_cmpx_ne_u64_e32 0x7f800000, v[6:7]
	s_cbranch_execz .LBB1_177
; %bb.164:                              ;   in Loop: Header=BB1_163 Depth=2
	v_and_b32_e32 v6, 0x7fffffff, v22
	v_lshrrev_b32_e32 v1, 24, v22
                                        ; implicit-def: $vgpr18_vgpr19
	s_mov_b32 s0, exec_lo
	s_delay_alu instid0(VALU_DEP_2)
	v_cmpx_gt_u64_e32 0x43700001, v[6:7]
	s_xor_b32 s29, exec_lo, s0
	s_cbranch_execz .LBB1_174
; %bb.165:                              ;   in Loop: Header=BB1_163 Depth=2
	v_mov_b64_e32 v[18:19], 0
	s_mov_b32 s34, exec_lo
	v_cmpx_ne_u32_e32 0, v22
	s_cbranch_execz .LBB1_173
; %bb.166:                              ;   in Loop: Header=BB1_163 Depth=2
	v_bfe_u32 v21, v22, 23, 8
	s_delay_alu instid0(VALU_DEP_1) | instskip(SKIP_1) | instid1(VALU_DEP_2)
	v_sub_nc_u32_e32 v6, 0x78, v21
	v_cmp_gt_u32_e32 vcc_lo, 0x79, v21
	v_cndmask_b32_e32 v6, 0, v6, vcc_lo
	v_cmp_eq_u32_e32 vcc_lo, 0, v21
	s_delay_alu instid0(VALU_DEP_2) | instskip(SKIP_1) | instid1(VALU_DEP_2)
	v_cndmask_b32_e64 v24, v6, 0x77, vcc_lo
	v_and_b32_e32 v6, 0x7fffff, v22
	v_add_nc_u32_e32 v18, 20, v24
	s_delay_alu instid0(VALU_DEP_2) | instskip(SKIP_1) | instid1(VALU_DEP_3)
	v_or_b32_e32 v22, 0x800000, v6
	v_add_nc_u32_e32 v23, 19, v24
	v_lshlrev_b64_e64 v[18:19], v18, -1
	s_delay_alu instid0(VALU_DEP_3) | instskip(NEXT) | instid1(VALU_DEP_3)
	v_cndmask_b32_e32 v6, v22, v6, vcc_lo
	v_lshlrev_b64_e64 v[22:23], v23, 1
	s_delay_alu instid0(VALU_DEP_3) | instskip(NEXT) | instid1(VALU_DEP_3)
	v_bfi_b32 v27, v19, 0, 0
	v_bfi_b32 v26, v18, 0, v6
	v_lshrrev_b64 v[18:19], v24, v[6:7]
	s_delay_alu instid0(VALU_DEP_2) | instskip(NEXT) | instid1(VALU_DEP_2)
	v_cmp_eq_u64_e64 s0, v[26:27], v[22:23]
	v_mov_b64_e32 v[22:23], v[18:19]
	s_and_saveexec_b32 s35, s0
; %bb.167:                              ;   in Loop: Header=BB1_163 Depth=2
	v_bfe_u32 v6, v18, 20, 1
	s_delay_alu instid0(VALU_DEP_1) | instskip(NEXT) | instid1(VALU_DEP_1)
	v_add_nc_u64_e32 v[22:23], v[18:19], v[6:7]
	v_add_nc_u64_e32 v[22:23], -1, v[22:23]
; %bb.168:                              ;   in Loop: Header=BB1_163 Depth=2
	s_or_b32 exec_lo, exec_lo, s35
	v_add_nc_u32_e32 v6, 0xffffff81, v21
	v_lshrrev_b32_e32 v19, 23, v18
	s_mov_b32 s0, exec_lo
                                        ; implicit-def: $vgpr21
	s_delay_alu instid0(VALU_DEP_2) | instskip(NEXT) | instid1(VALU_DEP_1)
	v_cndmask_b32_e64 v6, v6, 0xffffff82, vcc_lo
	v_add3_u32 v23, v24, v6, v19
	v_and_b32_e32 v6, 0xfffff, v22
	s_delay_alu instid0(VALU_DEP_1) | instskip(NEXT) | instid1(VALU_DEP_1)
	v_dual_add_nc_u32 v22, 7, v23 :: v_dual_add_nc_u32 v6, v6, v18
                                        ; implicit-def: $vgpr18_vgpr19
	v_cmpx_ne_u32_e32 0, v22
	s_xor_b32 s0, exec_lo, s0
; %bb.169:                              ;   in Loop: Header=BB1_163 Depth=2
	s_delay_alu instid0(VALU_DEP_2) | instskip(SKIP_1) | instid1(VALU_DEP_1)
	v_cmp_lt_u64_e32 vcc_lo, 0xffffff, v[6:7]
	v_add_nc_u32_e32 v18, 8, v23
	v_cndmask_b32_e32 v21, v22, v18, vcc_lo
	v_cndmask_b32_e64 v18, 0, 1, vcc_lo
	s_delay_alu instid0(VALU_DEP_1)
	v_lshrrev_b64 v[18:19], v18, v[6:7]
; %bb.170:                              ;   in Loop: Header=BB1_163 Depth=2
	s_and_not1_saveexec_b32 s0, s0
; %bb.171:                              ;   in Loop: Header=BB1_163 Depth=2
	v_mov_b64_e32 v[18:19], v[6:7]
	v_bfe_u32 v21, v6, 23, 1
; %bb.172:                              ;   in Loop: Header=BB1_163 Depth=2
	s_or_b32 exec_lo, exec_lo, s0
	s_delay_alu instid0(VALU_DEP_2) | instskip(NEXT) | instid1(VALU_DEP_2)
	v_lshrrev_b64 v[18:19], 20, v[18:19]
	v_cmp_gt_i32_e32 vcc_lo, 16, v21
	v_and_b32_e32 v1, 0x80, v1
	v_min_i32_e32 v6, 15, v21
	v_cmp_eq_u32_e64 s0, 0, v21
	v_dual_cndmask_b32 v19, 0, v19 :: v_dual_cndmask_b32 v18, 7, v18
	s_delay_alu instid0(VALU_DEP_3) | instskip(NEXT) | instid1(VALU_DEP_2)
	v_lshl_or_b32 v1, v6, 3, v1
	v_cmp_eq_u64_e32 vcc_lo, 0, v[18:19]
	s_delay_alu instid0(VALU_DEP_2)
	v_and_or_b32 v1, v18, 7, v1
	s_and_b32 s0, s0, vcc_lo
	s_delay_alu instid0(VALU_DEP_1) | instid1(SALU_CYCLE_1)
	v_cndmask_b32_e64 v18, v1, 0, s0
.LBB1_173:                              ;   in Loop: Header=BB1_163 Depth=2
	s_or_b32 exec_lo, exec_lo, s34
                                        ; implicit-def: $vgpr1
.LBB1_174:                              ;   in Loop: Header=BB1_163 Depth=2
	s_and_not1_saveexec_b32 s0, s29
; %bb.175:                              ;   in Loop: Header=BB1_163 Depth=2
	v_or_b32_e32 v18, 0x7f, v1
; %bb.176:                              ;   in Loop: Header=BB1_163 Depth=2
	s_or_b32 exec_lo, exec_lo, s0
.LBB1_177:                              ;   in Loop: Header=BB1_163 Depth=2
	s_delay_alu instid0(SALU_CYCLE_1) | instskip(SKIP_2) | instid1(VALU_DEP_1)
	s_or_b32 exec_lo, exec_lo, s28
	v_and_b32_e32 v1, 0xffff0000, v2
	s_mov_b32 s28, exec_lo
	v_div_scale_f32 v2, null, s10, s10, v1
	s_delay_alu instid0(VALU_DEP_1) | instskip(SKIP_1) | instid1(TRANS32_DEP_1)
	v_rcp_f32_e32 v6, v2
	v_nop
	v_fma_f32 v19, -v2, v6, 1.0
	s_delay_alu instid0(VALU_DEP_1) | instskip(SKIP_1) | instid1(VALU_DEP_1)
	v_fmac_f32_e32 v6, v19, v6
	v_div_scale_f32 v19, vcc_lo, v1, s10, v1
	v_mul_f32_e32 v21, v19, v6
	s_delay_alu instid0(VALU_DEP_1) | instskip(NEXT) | instid1(VALU_DEP_1)
	v_fma_f32 v22, -v2, v21, v19
	v_fmac_f32_e32 v21, v22, v6
	s_delay_alu instid0(VALU_DEP_1) | instskip(NEXT) | instid1(VALU_DEP_1)
	v_fma_f32 v2, -v2, v21, v19
	v_div_fmas_f32 v2, v2, v6, v21
	s_delay_alu instid0(VALU_DEP_1) | instskip(NEXT) | instid1(VALU_DEP_1)
	v_div_fixup_f32 v2, v2, s10, v1
	v_and_b32_e32 v6, 0x7f800000, v2
	s_delay_alu instid0(VALU_DEP_1)
	v_cmpx_ne_u64_e32 0x7f800000, v[6:7]
	s_cbranch_execz .LBB1_191
; %bb.178:                              ;   in Loop: Header=BB1_163 Depth=2
	v_and_b32_e32 v6, 0x7fffffff, v2
	v_lshrrev_b32_e32 v1, 24, v2
                                        ; implicit-def: $vgpr20_vgpr21
	s_mov_b32 s0, exec_lo
	s_delay_alu instid0(VALU_DEP_2)
	v_cmpx_gt_u64_e32 0x43700001, v[6:7]
	s_xor_b32 s29, exec_lo, s0
	s_cbranch_execz .LBB1_188
; %bb.179:                              ;   in Loop: Header=BB1_163 Depth=2
	v_mov_b64_e32 v[20:21], 0
	s_mov_b32 s34, exec_lo
	v_cmpx_ne_u32_e32 0, v2
	s_cbranch_execz .LBB1_187
; %bb.180:                              ;   in Loop: Header=BB1_163 Depth=2
	v_bfe_u32 v19, v2, 23, 8
	v_and_b32_e32 v2, 0x7fffff, v2
	s_delay_alu instid0(VALU_DEP_2) | instskip(SKIP_1) | instid1(VALU_DEP_3)
	v_sub_nc_u32_e32 v6, 0x78, v19
	v_cmp_gt_u32_e32 vcc_lo, 0x79, v19
	v_or_b32_e32 v22, 0x800000, v2
	s_delay_alu instid0(VALU_DEP_3) | instskip(SKIP_1) | instid1(VALU_DEP_2)
	v_cndmask_b32_e32 v6, 0, v6, vcc_lo
	v_cmp_eq_u32_e32 vcc_lo, 0, v19
	v_cndmask_b32_e64 v24, v6, 0x77, vcc_lo
	s_delay_alu instid0(VALU_DEP_1) | instskip(NEXT) | instid1(VALU_DEP_1)
	v_dual_add_nc_u32 v6, 20, v24 :: v_dual_add_nc_u32 v23, 19, v24
	v_lshlrev_b64_e64 v[20:21], v6, -1
	v_cndmask_b32_e32 v6, v22, v2, vcc_lo
	s_delay_alu instid0(VALU_DEP_3) | instskip(NEXT) | instid1(VALU_DEP_3)
	v_lshlrev_b64_e64 v[22:23], v23, 1
	v_bfi_b32 v27, v21, 0, 0
	s_delay_alu instid0(VALU_DEP_3) | instskip(SKIP_1) | instid1(VALU_DEP_2)
	v_bfi_b32 v26, v20, 0, v6
	v_lshrrev_b64 v[20:21], v24, v[6:7]
	v_cmp_eq_u64_e64 s0, v[26:27], v[22:23]
	s_delay_alu instid0(VALU_DEP_2)
	v_mov_b64_e32 v[22:23], v[20:21]
	s_and_saveexec_b32 s35, s0
; %bb.181:                              ;   in Loop: Header=BB1_163 Depth=2
	v_bfe_u32 v6, v20, 20, 1
	s_delay_alu instid0(VALU_DEP_1) | instskip(NEXT) | instid1(VALU_DEP_1)
	v_add_nc_u64_e32 v[22:23], v[20:21], v[6:7]
	v_add_nc_u64_e32 v[22:23], -1, v[22:23]
; %bb.182:                              ;   in Loop: Header=BB1_163 Depth=2
	s_or_b32 exec_lo, exec_lo, s35
	v_add_nc_u32_e32 v2, 0xffffff81, v19
	v_lshrrev_b32_e32 v6, 23, v20
	s_mov_b32 s0, exec_lo
	s_delay_alu instid0(VALU_DEP_2) | instskip(NEXT) | instid1(VALU_DEP_1)
	v_cndmask_b32_e64 v2, v2, 0xffffff82, vcc_lo
	v_add3_u32 v19, v24, v2, v6
	v_and_b32_e32 v2, 0xfffff, v22
	s_delay_alu instid0(VALU_DEP_1) | instskip(NEXT) | instid1(VALU_DEP_1)
	v_dual_add_nc_u32 v22, 7, v19 :: v_dual_add_nc_u32 v6, v2, v20
                                        ; implicit-def: $vgpr20_vgpr21
                                        ; implicit-def: $vgpr2
	v_cmpx_ne_u32_e32 0, v22
	s_xor_b32 s0, exec_lo, s0
; %bb.183:                              ;   in Loop: Header=BB1_163 Depth=2
	s_delay_alu instid0(VALU_DEP_2) | instskip(SKIP_2) | instid1(VALU_DEP_2)
	v_cmp_lt_u64_e32 vcc_lo, 0xffffff, v[6:7]
	v_add_nc_u32_e32 v2, 8, v19
	v_cndmask_b32_e64 v19, 0, 1, vcc_lo
	v_cndmask_b32_e32 v2, v22, v2, vcc_lo
	s_delay_alu instid0(VALU_DEP_2)
	v_lshrrev_b64 v[20:21], v19, v[6:7]
; %bb.184:                              ;   in Loop: Header=BB1_163 Depth=2
	s_and_not1_saveexec_b32 s0, s0
; %bb.185:                              ;   in Loop: Header=BB1_163 Depth=2
	v_mov_b64_e32 v[20:21], v[6:7]
	v_bfe_u32 v2, v6, 23, 1
; %bb.186:                              ;   in Loop: Header=BB1_163 Depth=2
	s_or_b32 exec_lo, exec_lo, s0
	s_delay_alu instid0(VALU_DEP_2) | instskip(NEXT) | instid1(VALU_DEP_2)
	v_lshrrev_b64 v[20:21], 20, v[20:21]
	v_cmp_gt_i32_e32 vcc_lo, 16, v2
	v_and_b32_e32 v1, 0x80, v1
	v_min_i32_e32 v6, 15, v2
	v_cmp_eq_u32_e64 s0, 0, v2
	v_dual_cndmask_b32 v21, 0, v21 :: v_dual_cndmask_b32 v20, 7, v20
	s_delay_alu instid0(VALU_DEP_3) | instskip(NEXT) | instid1(VALU_DEP_2)
	v_lshl_or_b32 v1, v6, 3, v1
	v_cmp_eq_u64_e32 vcc_lo, 0, v[20:21]
	s_delay_alu instid0(VALU_DEP_2)
	v_and_or_b32 v1, v20, 7, v1
	s_and_b32 s0, s0, vcc_lo
	s_delay_alu instid0(VALU_DEP_1) | instid1(SALU_CYCLE_1)
	v_cndmask_b32_e64 v20, v1, 0, s0
.LBB1_187:                              ;   in Loop: Header=BB1_163 Depth=2
	s_or_b32 exec_lo, exec_lo, s34
                                        ; implicit-def: $vgpr1
.LBB1_188:                              ;   in Loop: Header=BB1_163 Depth=2
	s_and_not1_saveexec_b32 s0, s29
; %bb.189:                              ;   in Loop: Header=BB1_163 Depth=2
	v_or_b32_e32 v20, 0x7f, v1
; %bb.190:                              ;   in Loop: Header=BB1_163 Depth=2
	s_or_b32 exec_lo, exec_lo, s0
.LBB1_191:                              ;   in Loop: Header=BB1_163 Depth=2
	s_delay_alu instid0(SALU_CYCLE_1) | instskip(SKIP_3) | instid1(VALU_DEP_2)
	s_or_b32 exec_lo, exec_lo, s28
	v_lshlrev_b32_e32 v1, 16, v3
	v_mov_b64_e32 v[24:25], 0x80
	s_mov_b32 s28, exec_lo
	v_div_scale_f32 v2, null, s10, s10, v1
	s_delay_alu instid0(VALU_DEP_1) | instskip(SKIP_1) | instid1(TRANS32_DEP_1)
	v_rcp_f32_e32 v6, v2
	v_nop
	v_fma_f32 v19, -v2, v6, 1.0
	s_delay_alu instid0(VALU_DEP_1) | instskip(SKIP_1) | instid1(VALU_DEP_1)
	v_fmac_f32_e32 v6, v19, v6
	v_div_scale_f32 v21, vcc_lo, v1, s10, v1
	v_mul_f32_e32 v19, v21, v6
	s_delay_alu instid0(VALU_DEP_1) | instskip(NEXT) | instid1(VALU_DEP_1)
	v_fma_f32 v22, -v2, v19, v21
	v_fmac_f32_e32 v19, v22, v6
	v_mov_b64_e32 v[22:23], 0x80
	s_delay_alu instid0(VALU_DEP_2) | instskip(NEXT) | instid1(VALU_DEP_1)
	v_fma_f32 v2, -v2, v19, v21
	v_div_fmas_f32 v2, v2, v6, v19
	s_delay_alu instid0(VALU_DEP_1) | instskip(NEXT) | instid1(VALU_DEP_1)
	v_div_fixup_f32 v2, v2, s10, v1
	v_and_b32_e32 v6, 0x7f800000, v2
	s_delay_alu instid0(VALU_DEP_1)
	v_cmpx_ne_u64_e32 0x7f800000, v[6:7]
	s_cbranch_execz .LBB1_205
; %bb.192:                              ;   in Loop: Header=BB1_163 Depth=2
	v_and_b32_e32 v6, 0x7fffffff, v2
	v_lshrrev_b32_e32 v1, 24, v2
                                        ; implicit-def: $vgpr24_vgpr25
	s_mov_b32 s0, exec_lo
	s_delay_alu instid0(VALU_DEP_2)
	v_cmpx_gt_u64_e32 0x43700001, v[6:7]
	s_xor_b32 s29, exec_lo, s0
	s_cbranch_execz .LBB1_202
; %bb.193:                              ;   in Loop: Header=BB1_163 Depth=2
	v_mov_b64_e32 v[24:25], 0
	s_mov_b32 s34, exec_lo
	v_cmpx_ne_u32_e32 0, v2
	s_cbranch_execz .LBB1_201
; %bb.194:                              ;   in Loop: Header=BB1_163 Depth=2
	v_bfe_u32 v19, v2, 23, 8
	v_and_b32_e32 v2, 0x7fffff, v2
	s_delay_alu instid0(VALU_DEP_2) | instskip(SKIP_1) | instid1(VALU_DEP_3)
	v_sub_nc_u32_e32 v6, 0x78, v19
	v_cmp_gt_u32_e32 vcc_lo, 0x79, v19
	v_or_b32_e32 v23, 0x800000, v2
	s_delay_alu instid0(VALU_DEP_3) | instskip(SKIP_1) | instid1(VALU_DEP_2)
	v_cndmask_b32_e32 v6, 0, v6, vcc_lo
	v_cmp_eq_u32_e32 vcc_lo, 0, v19
	v_cndmask_b32_e64 v21, v6, 0x77, vcc_lo
	s_delay_alu instid0(VALU_DEP_1) | instskip(NEXT) | instid1(VALU_DEP_1)
	v_dual_add_nc_u32 v6, 20, v21 :: v_dual_add_nc_u32 v26, 19, v21
	v_lshlrev_b64_e64 v[24:25], v6, -1
	v_cndmask_b32_e32 v6, v23, v2, vcc_lo
	s_delay_alu instid0(VALU_DEP_3) | instskip(NEXT) | instid1(VALU_DEP_3)
	v_lshlrev_b64_e64 v[26:27], v26, 1
	v_bfi_b32 v29, v25, 0, 0
	s_delay_alu instid0(VALU_DEP_3) | instskip(SKIP_1) | instid1(VALU_DEP_2)
	v_bfi_b32 v28, v24, 0, v6
	v_lshrrev_b64 v[24:25], v21, v[6:7]
	v_cmp_eq_u64_e64 s0, v[28:29], v[26:27]
	s_delay_alu instid0(VALU_DEP_2)
	v_mov_b64_e32 v[26:27], v[24:25]
	s_and_saveexec_b32 s35, s0
; %bb.195:                              ;   in Loop: Header=BB1_163 Depth=2
	v_bfe_u32 v6, v24, 20, 1
	s_delay_alu instid0(VALU_DEP_1) | instskip(NEXT) | instid1(VALU_DEP_1)
	v_add_nc_u64_e32 v[26:27], v[24:25], v[6:7]
	v_add_nc_u64_e32 v[26:27], -1, v[26:27]
; %bb.196:                              ;   in Loop: Header=BB1_163 Depth=2
	s_or_b32 exec_lo, exec_lo, s35
	v_add_nc_u32_e32 v2, 0xffffff81, v19
	v_lshrrev_b32_e32 v6, 23, v24
	s_mov_b32 s0, exec_lo
	s_delay_alu instid0(VALU_DEP_2) | instskip(NEXT) | instid1(VALU_DEP_1)
	v_cndmask_b32_e64 v2, v2, 0xffffff82, vcc_lo
	v_add3_u32 v19, v21, v2, v6
	v_and_b32_e32 v2, 0xfffff, v26
	s_delay_alu instid0(VALU_DEP_1) | instskip(NEXT) | instid1(VALU_DEP_1)
	v_dual_add_nc_u32 v21, 7, v19 :: v_dual_add_nc_u32 v6, v2, v24
                                        ; implicit-def: $vgpr24_vgpr25
                                        ; implicit-def: $vgpr2
	v_cmpx_ne_u32_e32 0, v21
	s_xor_b32 s0, exec_lo, s0
; %bb.197:                              ;   in Loop: Header=BB1_163 Depth=2
	s_delay_alu instid0(VALU_DEP_2) | instskip(SKIP_2) | instid1(VALU_DEP_2)
	v_cmp_lt_u64_e32 vcc_lo, 0xffffff, v[6:7]
	v_add_nc_u32_e32 v2, 8, v19
	v_cndmask_b32_e64 v19, 0, 1, vcc_lo
	v_cndmask_b32_e32 v2, v21, v2, vcc_lo
	s_delay_alu instid0(VALU_DEP_2)
	v_lshrrev_b64 v[24:25], v19, v[6:7]
; %bb.198:                              ;   in Loop: Header=BB1_163 Depth=2
	s_and_not1_saveexec_b32 s0, s0
; %bb.199:                              ;   in Loop: Header=BB1_163 Depth=2
	v_mov_b64_e32 v[24:25], v[6:7]
	v_bfe_u32 v2, v6, 23, 1
; %bb.200:                              ;   in Loop: Header=BB1_163 Depth=2
	s_or_b32 exec_lo, exec_lo, s0
	s_delay_alu instid0(VALU_DEP_2) | instskip(NEXT) | instid1(VALU_DEP_2)
	v_lshrrev_b64 v[24:25], 20, v[24:25]
	v_cmp_gt_i32_e32 vcc_lo, 16, v2
	v_and_b32_e32 v1, 0x80, v1
	v_min_i32_e32 v6, 15, v2
	v_cmp_eq_u32_e64 s0, 0, v2
	v_dual_cndmask_b32 v25, 0, v25 :: v_dual_cndmask_b32 v24, 7, v24
	s_delay_alu instid0(VALU_DEP_3) | instskip(NEXT) | instid1(VALU_DEP_2)
	v_lshl_or_b32 v1, v6, 3, v1
	v_cmp_eq_u64_e32 vcc_lo, 0, v[24:25]
	s_delay_alu instid0(VALU_DEP_2)
	v_and_or_b32 v1, v24, 7, v1
	s_and_b32 s0, s0, vcc_lo
	s_delay_alu instid0(VALU_DEP_1) | instid1(SALU_CYCLE_1)
	v_cndmask_b32_e64 v24, v1, 0, s0
.LBB1_201:                              ;   in Loop: Header=BB1_163 Depth=2
	s_or_b32 exec_lo, exec_lo, s34
                                        ; implicit-def: $vgpr1
.LBB1_202:                              ;   in Loop: Header=BB1_163 Depth=2
	s_and_not1_saveexec_b32 s0, s29
; %bb.203:                              ;   in Loop: Header=BB1_163 Depth=2
	v_or_b32_e32 v24, 0x7f, v1
; %bb.204:                              ;   in Loop: Header=BB1_163 Depth=2
	s_or_b32 exec_lo, exec_lo, s0
.LBB1_205:                              ;   in Loop: Header=BB1_163 Depth=2
	s_delay_alu instid0(SALU_CYCLE_1) | instskip(SKIP_2) | instid1(VALU_DEP_1)
	s_or_b32 exec_lo, exec_lo, s28
	v_and_b32_e32 v1, 0xffff0000, v3
	s_mov_b32 s28, exec_lo
	v_div_scale_f32 v2, null, s10, s10, v1
	s_delay_alu instid0(VALU_DEP_1) | instskip(SKIP_1) | instid1(TRANS32_DEP_1)
	v_rcp_f32_e32 v3, v2
	v_nop
	v_fma_f32 v6, -v2, v3, 1.0
	s_delay_alu instid0(VALU_DEP_1) | instskip(SKIP_1) | instid1(VALU_DEP_1)
	v_fmac_f32_e32 v3, v6, v3
	v_div_scale_f32 v6, vcc_lo, v1, s10, v1
	v_mul_f32_e32 v19, v6, v3
	s_delay_alu instid0(VALU_DEP_1) | instskip(NEXT) | instid1(VALU_DEP_1)
	v_fma_f32 v21, -v2, v19, v6
	v_fmac_f32_e32 v19, v21, v3
	s_delay_alu instid0(VALU_DEP_1) | instskip(NEXT) | instid1(VALU_DEP_1)
	v_fma_f32 v2, -v2, v19, v6
	v_div_fmas_f32 v2, v2, v3, v19
	s_delay_alu instid0(VALU_DEP_1) | instskip(NEXT) | instid1(VALU_DEP_1)
	v_div_fixup_f32 v2, v2, s10, v1
	v_and_b32_e32 v6, 0x7f800000, v2
	s_delay_alu instid0(VALU_DEP_1)
	v_cmpx_ne_u64_e32 0x7f800000, v[6:7]
	s_cbranch_execz .LBB1_219
; %bb.206:                              ;   in Loop: Header=BB1_163 Depth=2
	v_and_b32_e32 v6, 0x7fffffff, v2
	v_lshrrev_b32_e32 v1, 24, v2
                                        ; implicit-def: $vgpr22_vgpr23
	s_mov_b32 s0, exec_lo
	s_delay_alu instid0(VALU_DEP_2)
	v_cmpx_gt_u64_e32 0x43700001, v[6:7]
	s_xor_b32 s29, exec_lo, s0
	s_cbranch_execz .LBB1_216
; %bb.207:                              ;   in Loop: Header=BB1_163 Depth=2
	v_mov_b64_e32 v[22:23], 0
	s_mov_b32 s34, exec_lo
	v_cmpx_ne_u32_e32 0, v2
	s_cbranch_execz .LBB1_215
; %bb.208:                              ;   in Loop: Header=BB1_163 Depth=2
	v_bfe_u32 v19, v2, 23, 8
	v_and_b32_e32 v6, 0x7fffff, v2
	s_delay_alu instid0(VALU_DEP_2) | instskip(NEXT) | instid1(VALU_DEP_2)
	v_cmp_gt_u32_e32 vcc_lo, 0x79, v19
	v_or_b32_e32 v22, 0x800000, v6
	v_sub_nc_u32_e32 v3, 0x78, v19
	s_delay_alu instid0(VALU_DEP_1) | instskip(SKIP_1) | instid1(VALU_DEP_2)
	v_cndmask_b32_e32 v3, 0, v3, vcc_lo
	v_cmp_eq_u32_e32 vcc_lo, 0, v19
	v_cndmask_b32_e64 v21, v3, 0x77, vcc_lo
	s_delay_alu instid0(VALU_DEP_1) | instskip(SKIP_1) | instid1(VALU_DEP_2)
	v_dual_cndmask_b32 v6, v22, v6, vcc_lo :: v_dual_add_nc_u32 v2, 20, v21
	v_add_nc_u32_e32 v23, 19, v21
	v_lshlrev_b64_e64 v[2:3], v2, -1
	s_delay_alu instid0(VALU_DEP_2) | instskip(NEXT) | instid1(VALU_DEP_2)
	v_lshlrev_b64_e64 v[22:23], v23, 1
	v_bfi_b32 v27, v3, 0, 0
	s_delay_alu instid0(VALU_DEP_3) | instskip(SKIP_1) | instid1(VALU_DEP_2)
	v_bfi_b32 v26, v2, 0, v6
	v_lshrrev_b64 v[2:3], v21, v[6:7]
	v_cmp_eq_u64_e64 s0, v[26:27], v[22:23]
	s_delay_alu instid0(VALU_DEP_2)
	v_mov_b64_e32 v[22:23], v[2:3]
	s_and_saveexec_b32 s35, s0
; %bb.209:                              ;   in Loop: Header=BB1_163 Depth=2
	v_bfe_u32 v6, v2, 20, 1
	s_delay_alu instid0(VALU_DEP_1) | instskip(NEXT) | instid1(VALU_DEP_1)
	v_add_nc_u64_e32 v[22:23], v[2:3], v[6:7]
	v_add_nc_u64_e32 v[22:23], -1, v[22:23]
; %bb.210:                              ;   in Loop: Header=BB1_163 Depth=2
	s_or_b32 exec_lo, exec_lo, s35
	v_add_nc_u32_e32 v3, 0xffffff81, v19
	v_lshrrev_b32_e32 v6, 23, v2
	s_mov_b32 s0, exec_lo
                                        ; implicit-def: $vgpr19
	s_delay_alu instid0(VALU_DEP_2) | instskip(NEXT) | instid1(VALU_DEP_1)
	v_cndmask_b32_e64 v3, v3, 0xffffff82, vcc_lo
	v_add3_u32 v21, v21, v3, v6
	v_and_b32_e32 v3, 0xfffff, v22
	s_delay_alu instid0(VALU_DEP_1) | instskip(NEXT) | instid1(VALU_DEP_1)
	v_dual_add_nc_u32 v22, 7, v21 :: v_dual_add_nc_u32 v6, v3, v2
                                        ; implicit-def: $vgpr2_vgpr3
	v_cmpx_ne_u32_e32 0, v22
	s_xor_b32 s0, exec_lo, s0
; %bb.211:                              ;   in Loop: Header=BB1_163 Depth=2
	s_delay_alu instid0(VALU_DEP_2) | instskip(SKIP_1) | instid1(VALU_DEP_1)
	v_cmp_lt_u64_e32 vcc_lo, 0xffffff, v[6:7]
	v_add_nc_u32_e32 v2, 8, v21
	v_cndmask_b32_e32 v19, v22, v2, vcc_lo
	v_cndmask_b32_e64 v2, 0, 1, vcc_lo
	s_delay_alu instid0(VALU_DEP_1)
	v_lshrrev_b64 v[2:3], v2, v[6:7]
; %bb.212:                              ;   in Loop: Header=BB1_163 Depth=2
	s_and_not1_saveexec_b32 s0, s0
; %bb.213:                              ;   in Loop: Header=BB1_163 Depth=2
	v_mov_b64_e32 v[2:3], v[6:7]
	v_bfe_u32 v19, v6, 23, 1
; %bb.214:                              ;   in Loop: Header=BB1_163 Depth=2
	s_or_b32 exec_lo, exec_lo, s0
	s_delay_alu instid0(VALU_DEP_2) | instskip(NEXT) | instid1(VALU_DEP_2)
	v_lshrrev_b64 v[2:3], 20, v[2:3]
	v_cmp_gt_i32_e32 vcc_lo, 16, v19
	v_and_b32_e32 v1, 0x80, v1
	v_min_i32_e32 v6, 15, v19
	v_cmp_eq_u32_e64 s0, 0, v19
	v_dual_cndmask_b32 v3, 0, v3 :: v_dual_cndmask_b32 v2, 7, v2
	s_delay_alu instid0(VALU_DEP_3) | instskip(NEXT) | instid1(VALU_DEP_2)
	v_lshl_or_b32 v1, v6, 3, v1
	v_cmp_eq_u64_e32 vcc_lo, 0, v[2:3]
	s_delay_alu instid0(VALU_DEP_2)
	v_and_or_b32 v1, v2, 7, v1
	s_and_b32 s0, s0, vcc_lo
	s_delay_alu instid0(VALU_DEP_1) | instid1(SALU_CYCLE_1)
	v_cndmask_b32_e64 v22, v1, 0, s0
.LBB1_215:                              ;   in Loop: Header=BB1_163 Depth=2
	s_or_b32 exec_lo, exec_lo, s34
                                        ; implicit-def: $vgpr1
.LBB1_216:                              ;   in Loop: Header=BB1_163 Depth=2
	s_and_not1_saveexec_b32 s0, s29
; %bb.217:                              ;   in Loop: Header=BB1_163 Depth=2
	v_or_b32_e32 v22, 0x7f, v1
; %bb.218:                              ;   in Loop: Header=BB1_163 Depth=2
	s_or_b32 exec_lo, exec_lo, s0
.LBB1_219:                              ;   in Loop: Header=BB1_163 Depth=2
	s_delay_alu instid0(SALU_CYCLE_1) | instskip(SKIP_3) | instid1(VALU_DEP_2)
	s_or_b32 exec_lo, exec_lo, s28
	v_lshlrev_b32_e32 v1, 16, v4
	v_mov_b64_e32 v[26:27], 0x80
	s_mov_b32 s28, exec_lo
	v_div_scale_f32 v2, null, s10, s10, v1
	s_delay_alu instid0(VALU_DEP_1) | instskip(SKIP_1) | instid1(TRANS32_DEP_1)
	v_rcp_f32_e32 v3, v2
	v_nop
	v_fma_f32 v6, -v2, v3, 1.0
	s_delay_alu instid0(VALU_DEP_1) | instskip(SKIP_1) | instid1(VALU_DEP_1)
	v_fmac_f32_e32 v3, v6, v3
	v_div_scale_f32 v19, vcc_lo, v1, s10, v1
	v_mul_f32_e32 v6, v19, v3
	s_delay_alu instid0(VALU_DEP_1) | instskip(NEXT) | instid1(VALU_DEP_1)
	v_fma_f32 v21, -v2, v6, v19
	v_fmac_f32_e32 v6, v21, v3
	s_delay_alu instid0(VALU_DEP_1) | instskip(NEXT) | instid1(VALU_DEP_1)
	v_fma_f32 v2, -v2, v6, v19
	v_div_fmas_f32 v2, v2, v3, v6
	s_delay_alu instid0(VALU_DEP_1) | instskip(SKIP_1) | instid1(VALU_DEP_2)
	v_div_fixup_f32 v19, v2, s10, v1
	v_mov_b64_e32 v[2:3], 0x80
	v_and_b32_e32 v6, 0x7f800000, v19
	s_delay_alu instid0(VALU_DEP_1)
	v_cmpx_ne_u64_e32 0x7f800000, v[6:7]
	s_cbranch_execz .LBB1_233
; %bb.220:                              ;   in Loop: Header=BB1_163 Depth=2
	v_and_b32_e32 v6, 0x7fffffff, v19
	v_lshrrev_b32_e32 v1, 24, v19
                                        ; implicit-def: $vgpr2_vgpr3
	s_mov_b32 s0, exec_lo
	s_delay_alu instid0(VALU_DEP_2)
	v_cmpx_gt_u64_e32 0x43700001, v[6:7]
	s_xor_b32 s29, exec_lo, s0
	s_cbranch_execz .LBB1_230
; %bb.221:                              ;   in Loop: Header=BB1_163 Depth=2
	v_mov_b64_e32 v[2:3], 0
	s_mov_b32 s34, exec_lo
	v_cmpx_ne_u32_e32 0, v19
	s_cbranch_execz .LBB1_229
; %bb.222:                              ;   in Loop: Header=BB1_163 Depth=2
	v_bfe_u32 v21, v19, 23, 8
	v_and_b32_e32 v6, 0x7fffff, v19
	s_delay_alu instid0(VALU_DEP_2) | instskip(SKIP_1) | instid1(VALU_DEP_3)
	v_sub_nc_u32_e32 v2, 0x78, v21
	v_cmp_gt_u32_e32 vcc_lo, 0x79, v21
	v_or_b32_e32 v19, 0x800000, v6
	s_delay_alu instid0(VALU_DEP_3) | instskip(SKIP_1) | instid1(VALU_DEP_2)
	v_cndmask_b32_e32 v2, 0, v2, vcc_lo
	v_cmp_eq_u32_e32 vcc_lo, 0, v21
	v_cndmask_b32_e64 v23, v2, 0x77, vcc_lo
	s_delay_alu instid0(VALU_DEP_1) | instskip(SKIP_1) | instid1(VALU_DEP_2)
	v_dual_cndmask_b32 v6, v19, v6, vcc_lo :: v_dual_add_nc_u32 v2, 20, v23
	v_add_nc_u32_e32 v25, 19, v23
	v_lshlrev_b64_e64 v[2:3], v2, -1
	s_delay_alu instid0(VALU_DEP_2) | instskip(NEXT) | instid1(VALU_DEP_2)
	v_lshlrev_b64_e64 v[28:29], v25, 1
	v_bfi_b32 v31, v3, 0, 0
	s_delay_alu instid0(VALU_DEP_3) | instskip(SKIP_1) | instid1(VALU_DEP_2)
	v_bfi_b32 v30, v2, 0, v6
	v_lshrrev_b64 v[2:3], v23, v[6:7]
	v_cmp_eq_u64_e64 s0, v[30:31], v[28:29]
	s_delay_alu instid0(VALU_DEP_2)
	v_mov_b64_e32 v[28:29], v[2:3]
	s_and_saveexec_b32 s35, s0
; %bb.223:                              ;   in Loop: Header=BB1_163 Depth=2
	v_bfe_u32 v6, v2, 20, 1
	s_delay_alu instid0(VALU_DEP_1) | instskip(NEXT) | instid1(VALU_DEP_1)
	v_add_nc_u64_e32 v[28:29], v[2:3], v[6:7]
	v_add_nc_u64_e32 v[28:29], -1, v[28:29]
; %bb.224:                              ;   in Loop: Header=BB1_163 Depth=2
	s_or_b32 exec_lo, exec_lo, s35
	v_add_nc_u32_e32 v3, 0xffffff81, v21
	v_lshrrev_b32_e32 v6, 23, v2
	s_mov_b32 s0, exec_lo
                                        ; implicit-def: $vgpr19
	s_delay_alu instid0(VALU_DEP_2) | instskip(NEXT) | instid1(VALU_DEP_1)
	v_cndmask_b32_e64 v3, v3, 0xffffff82, vcc_lo
	v_add3_u32 v21, v23, v3, v6
	v_and_b32_e32 v3, 0xfffff, v28
	s_delay_alu instid0(VALU_DEP_1) | instskip(NEXT) | instid1(VALU_DEP_1)
	v_dual_add_nc_u32 v23, 7, v21 :: v_dual_add_nc_u32 v6, v3, v2
                                        ; implicit-def: $vgpr2_vgpr3
	v_cmpx_ne_u32_e32 0, v23
	s_xor_b32 s0, exec_lo, s0
; %bb.225:                              ;   in Loop: Header=BB1_163 Depth=2
	s_delay_alu instid0(VALU_DEP_2) | instskip(SKIP_1) | instid1(VALU_DEP_1)
	v_cmp_lt_u64_e32 vcc_lo, 0xffffff, v[6:7]
	v_add_nc_u32_e32 v2, 8, v21
	v_cndmask_b32_e32 v19, v23, v2, vcc_lo
	v_cndmask_b32_e64 v2, 0, 1, vcc_lo
	s_delay_alu instid0(VALU_DEP_1)
	v_lshrrev_b64 v[2:3], v2, v[6:7]
; %bb.226:                              ;   in Loop: Header=BB1_163 Depth=2
	s_and_not1_saveexec_b32 s0, s0
; %bb.227:                              ;   in Loop: Header=BB1_163 Depth=2
	v_mov_b64_e32 v[2:3], v[6:7]
	v_bfe_u32 v19, v6, 23, 1
; %bb.228:                              ;   in Loop: Header=BB1_163 Depth=2
	s_or_b32 exec_lo, exec_lo, s0
	s_delay_alu instid0(VALU_DEP_2) | instskip(NEXT) | instid1(VALU_DEP_2)
	v_lshrrev_b64 v[2:3], 20, v[2:3]
	v_cmp_gt_i32_e32 vcc_lo, 16, v19
	v_and_b32_e32 v1, 0x80, v1
	v_min_i32_e32 v6, 15, v19
	v_cmp_eq_u32_e64 s0, 0, v19
	v_dual_cndmask_b32 v3, 0, v3 :: v_dual_cndmask_b32 v2, 7, v2
	s_delay_alu instid0(VALU_DEP_3) | instskip(NEXT) | instid1(VALU_DEP_2)
	v_lshl_or_b32 v1, v6, 3, v1
	v_cmp_eq_u64_e32 vcc_lo, 0, v[2:3]
	s_delay_alu instid0(VALU_DEP_2)
	v_and_or_b32 v1, v2, 7, v1
	s_and_b32 s0, s0, vcc_lo
	s_delay_alu instid0(VALU_DEP_1) | instid1(SALU_CYCLE_1)
	v_cndmask_b32_e64 v2, v1, 0, s0
.LBB1_229:                              ;   in Loop: Header=BB1_163 Depth=2
	s_or_b32 exec_lo, exec_lo, s34
                                        ; implicit-def: $vgpr1
.LBB1_230:                              ;   in Loop: Header=BB1_163 Depth=2
	s_and_not1_saveexec_b32 s0, s29
; %bb.231:                              ;   in Loop: Header=BB1_163 Depth=2
	v_or_b32_e32 v2, 0x7f, v1
; %bb.232:                              ;   in Loop: Header=BB1_163 Depth=2
	s_or_b32 exec_lo, exec_lo, s0
.LBB1_233:                              ;   in Loop: Header=BB1_163 Depth=2
	s_delay_alu instid0(SALU_CYCLE_1) | instskip(SKIP_2) | instid1(VALU_DEP_1)
	s_or_b32 exec_lo, exec_lo, s28
	v_and_b32_e32 v1, 0xffff0000, v4
	s_mov_b32 s28, exec_lo
	v_div_scale_f32 v3, null, s10, s10, v1
	s_delay_alu instid0(VALU_DEP_1) | instskip(SKIP_1) | instid1(TRANS32_DEP_1)
	v_rcp_f32_e32 v4, v3
	v_nop
	v_fma_f32 v6, -v3, v4, 1.0
	s_delay_alu instid0(VALU_DEP_1) | instskip(SKIP_1) | instid1(VALU_DEP_1)
	v_fmac_f32_e32 v4, v6, v4
	v_div_scale_f32 v6, vcc_lo, v1, s10, v1
	v_mul_f32_e32 v19, v6, v4
	s_delay_alu instid0(VALU_DEP_1) | instskip(NEXT) | instid1(VALU_DEP_1)
	v_fma_f32 v21, -v3, v19, v6
	v_fmac_f32_e32 v19, v21, v4
	s_delay_alu instid0(VALU_DEP_1) | instskip(NEXT) | instid1(VALU_DEP_1)
	v_fma_f32 v3, -v3, v19, v6
	v_div_fmas_f32 v3, v3, v4, v19
	s_delay_alu instid0(VALU_DEP_1) | instskip(NEXT) | instid1(VALU_DEP_1)
	v_div_fixup_f32 v3, v3, s10, v1
	v_and_b32_e32 v6, 0x7f800000, v3
	s_delay_alu instid0(VALU_DEP_1)
	v_cmpx_ne_u64_e32 0x7f800000, v[6:7]
	s_cbranch_execz .LBB1_247
; %bb.234:                              ;   in Loop: Header=BB1_163 Depth=2
	v_and_b32_e32 v6, 0x7fffffff, v3
	v_lshrrev_b32_e32 v1, 24, v3
                                        ; implicit-def: $vgpr26_vgpr27
	s_mov_b32 s0, exec_lo
	s_delay_alu instid0(VALU_DEP_2)
	v_cmpx_gt_u64_e32 0x43700001, v[6:7]
	s_xor_b32 s29, exec_lo, s0
	s_cbranch_execz .LBB1_244
; %bb.235:                              ;   in Loop: Header=BB1_163 Depth=2
	v_mov_b64_e32 v[26:27], 0
	s_mov_b32 s34, exec_lo
	v_cmpx_ne_u32_e32 0, v3
	s_cbranch_execz .LBB1_243
; %bb.236:                              ;   in Loop: Header=BB1_163 Depth=2
	v_bfe_u32 v4, v3, 23, 8
	v_and_b32_e32 v3, 0x7fffff, v3
	s_delay_alu instid0(VALU_DEP_2) | instskip(SKIP_1) | instid1(VALU_DEP_3)
	v_sub_nc_u32_e32 v6, 0x78, v4
	v_cmp_gt_u32_e32 vcc_lo, 0x79, v4
	v_or_b32_e32 v21, 0x800000, v3
	s_delay_alu instid0(VALU_DEP_3) | instskip(SKIP_1) | instid1(VALU_DEP_2)
	v_cndmask_b32_e32 v6, 0, v6, vcc_lo
	v_cmp_eq_u32_e32 vcc_lo, 0, v4
	v_cndmask_b32_e64 v19, v6, 0x77, vcc_lo
	s_delay_alu instid0(VALU_DEP_1) | instskip(NEXT) | instid1(VALU_DEP_1)
	v_dual_add_nc_u32 v6, 20, v19 :: v_dual_add_nc_u32 v23, 19, v19
	v_lshlrev_b64_e64 v[26:27], v6, -1
	v_cndmask_b32_e32 v6, v21, v3, vcc_lo
	s_delay_alu instid0(VALU_DEP_3) | instskip(NEXT) | instid1(VALU_DEP_3)
	v_lshlrev_b64_e64 v[28:29], v23, 1
	v_bfi_b32 v31, v27, 0, 0
	s_delay_alu instid0(VALU_DEP_3) | instskip(SKIP_1) | instid1(VALU_DEP_2)
	v_bfi_b32 v30, v26, 0, v6
	v_lshrrev_b64 v[26:27], v19, v[6:7]
	v_cmp_eq_u64_e64 s0, v[30:31], v[28:29]
	s_delay_alu instid0(VALU_DEP_2)
	v_mov_b64_e32 v[28:29], v[26:27]
	s_and_saveexec_b32 s35, s0
; %bb.237:                              ;   in Loop: Header=BB1_163 Depth=2
	v_bfe_u32 v6, v26, 20, 1
	s_delay_alu instid0(VALU_DEP_1) | instskip(NEXT) | instid1(VALU_DEP_1)
	v_add_nc_u64_e32 v[28:29], v[26:27], v[6:7]
	v_add_nc_u64_e32 v[28:29], -1, v[28:29]
; %bb.238:                              ;   in Loop: Header=BB1_163 Depth=2
	s_or_b32 exec_lo, exec_lo, s35
	v_add_nc_u32_e32 v3, 0xffffff81, v4
	v_lshrrev_b32_e32 v4, 23, v26
	s_mov_b32 s0, exec_lo
	s_delay_alu instid0(VALU_DEP_2) | instskip(NEXT) | instid1(VALU_DEP_1)
	v_cndmask_b32_e64 v3, v3, 0xffffff82, vcc_lo
	v_add3_u32 v4, v19, v3, v4
	v_and_b32_e32 v3, 0xfffff, v28
	s_delay_alu instid0(VALU_DEP_1) | instskip(NEXT) | instid1(VALU_DEP_1)
	v_dual_add_nc_u32 v19, 7, v4 :: v_dual_add_nc_u32 v6, v3, v26
                                        ; implicit-def: $vgpr26_vgpr27
                                        ; implicit-def: $vgpr3
	v_cmpx_ne_u32_e32 0, v19
	s_xor_b32 s0, exec_lo, s0
; %bb.239:                              ;   in Loop: Header=BB1_163 Depth=2
	s_delay_alu instid0(VALU_DEP_2) | instskip(SKIP_2) | instid1(VALU_DEP_2)
	v_cmp_lt_u64_e32 vcc_lo, 0xffffff, v[6:7]
	v_add_nc_u32_e32 v3, 8, v4
	v_cndmask_b32_e64 v4, 0, 1, vcc_lo
	v_cndmask_b32_e32 v3, v19, v3, vcc_lo
	s_delay_alu instid0(VALU_DEP_2)
	v_lshrrev_b64 v[26:27], v4, v[6:7]
; %bb.240:                              ;   in Loop: Header=BB1_163 Depth=2
	s_and_not1_saveexec_b32 s0, s0
; %bb.241:                              ;   in Loop: Header=BB1_163 Depth=2
	v_mov_b64_e32 v[26:27], v[6:7]
	v_bfe_u32 v3, v6, 23, 1
; %bb.242:                              ;   in Loop: Header=BB1_163 Depth=2
	s_or_b32 exec_lo, exec_lo, s0
	s_delay_alu instid0(VALU_DEP_2) | instskip(NEXT) | instid1(VALU_DEP_2)
	v_lshrrev_b64 v[26:27], 20, v[26:27]
	v_cmp_gt_i32_e32 vcc_lo, 16, v3
	v_and_b32_e32 v1, 0x80, v1
	v_min_i32_e32 v4, 15, v3
	v_cmp_eq_u32_e64 s0, 0, v3
	v_dual_cndmask_b32 v27, 0, v27 :: v_dual_cndmask_b32 v26, 7, v26
	s_delay_alu instid0(VALU_DEP_3) | instskip(NEXT) | instid1(VALU_DEP_2)
	v_lshl_or_b32 v1, v4, 3, v1
	v_cmp_eq_u64_e32 vcc_lo, 0, v[26:27]
	s_delay_alu instid0(VALU_DEP_2)
	v_and_or_b32 v1, v26, 7, v1
	s_and_b32 s0, s0, vcc_lo
	s_delay_alu instid0(VALU_DEP_1) | instid1(SALU_CYCLE_1)
	v_cndmask_b32_e64 v26, v1, 0, s0
.LBB1_243:                              ;   in Loop: Header=BB1_163 Depth=2
	s_or_b32 exec_lo, exec_lo, s34
                                        ; implicit-def: $vgpr1
.LBB1_244:                              ;   in Loop: Header=BB1_163 Depth=2
	s_and_not1_saveexec_b32 s0, s29
; %bb.245:                              ;   in Loop: Header=BB1_163 Depth=2
	v_or_b32_e32 v26, 0x7f, v1
; %bb.246:                              ;   in Loop: Header=BB1_163 Depth=2
	s_or_b32 exec_lo, exec_lo, s0
.LBB1_247:                              ;   in Loop: Header=BB1_163 Depth=2
	s_delay_alu instid0(SALU_CYCLE_1) | instskip(SKIP_4) | instid1(VALU_DEP_3)
	s_or_b32 exec_lo, exec_lo, s28
	v_lshlrev_b32_e32 v1, 16, v5
	v_mov_b64_e32 v[28:29], 0x80
	v_mov_b64_e32 v[30:31], 0x80
	s_mov_b32 s28, exec_lo
	v_div_scale_f32 v3, null, s10, s10, v1
	s_delay_alu instid0(VALU_DEP_1) | instskip(SKIP_1) | instid1(TRANS32_DEP_1)
	v_rcp_f32_e32 v4, v3
	v_nop
	v_fma_f32 v6, -v3, v4, 1.0
	s_delay_alu instid0(VALU_DEP_1) | instskip(SKIP_1) | instid1(VALU_DEP_1)
	v_fmac_f32_e32 v4, v6, v4
	v_div_scale_f32 v19, vcc_lo, v1, s10, v1
	v_mul_f32_e32 v6, v19, v4
	s_delay_alu instid0(VALU_DEP_1) | instskip(NEXT) | instid1(VALU_DEP_1)
	v_fma_f32 v21, -v3, v6, v19
	v_fmac_f32_e32 v6, v21, v4
	s_delay_alu instid0(VALU_DEP_1) | instskip(NEXT) | instid1(VALU_DEP_1)
	v_fma_f32 v3, -v3, v6, v19
	v_div_fmas_f32 v3, v3, v4, v6
	s_delay_alu instid0(VALU_DEP_1) | instskip(NEXT) | instid1(VALU_DEP_1)
	v_div_fixup_f32 v3, v3, s10, v1
	v_and_b32_e32 v6, 0x7f800000, v3
	s_delay_alu instid0(VALU_DEP_1)
	v_cmpx_ne_u64_e32 0x7f800000, v[6:7]
	s_cbranch_execz .LBB1_261
; %bb.248:                              ;   in Loop: Header=BB1_163 Depth=2
	v_and_b32_e32 v6, 0x7fffffff, v3
	v_lshrrev_b32_e32 v1, 24, v3
                                        ; implicit-def: $vgpr30_vgpr31
	s_mov_b32 s0, exec_lo
	s_delay_alu instid0(VALU_DEP_2)
	v_cmpx_gt_u64_e32 0x43700001, v[6:7]
	s_xor_b32 s29, exec_lo, s0
	s_cbranch_execz .LBB1_258
; %bb.249:                              ;   in Loop: Header=BB1_163 Depth=2
	v_mov_b64_e32 v[30:31], 0
	s_mov_b32 s34, exec_lo
	v_cmpx_ne_u32_e32 0, v3
	s_cbranch_execz .LBB1_257
; %bb.250:                              ;   in Loop: Header=BB1_163 Depth=2
	v_bfe_u32 v4, v3, 23, 8
	v_and_b32_e32 v3, 0x7fffff, v3
	s_delay_alu instid0(VALU_DEP_2) | instskip(SKIP_1) | instid1(VALU_DEP_3)
	v_sub_nc_u32_e32 v6, 0x78, v4
	v_cmp_gt_u32_e32 vcc_lo, 0x79, v4
	v_or_b32_e32 v21, 0x800000, v3
	s_delay_alu instid0(VALU_DEP_3) | instskip(SKIP_1) | instid1(VALU_DEP_2)
	v_cndmask_b32_e32 v6, 0, v6, vcc_lo
	v_cmp_eq_u32_e32 vcc_lo, 0, v4
	v_cndmask_b32_e64 v19, v6, 0x77, vcc_lo
	s_delay_alu instid0(VALU_DEP_1) | instskip(NEXT) | instid1(VALU_DEP_1)
	v_dual_add_nc_u32 v6, 20, v19 :: v_dual_add_nc_u32 v23, 19, v19
	v_lshlrev_b64_e64 v[30:31], v6, -1
	v_cndmask_b32_e32 v6, v21, v3, vcc_lo
	s_delay_alu instid0(VALU_DEP_3) | instskip(NEXT) | instid1(VALU_DEP_3)
	v_lshlrev_b64_e64 v[32:33], v23, 1
	v_bfi_b32 v35, v31, 0, 0
	s_delay_alu instid0(VALU_DEP_3) | instskip(SKIP_1) | instid1(VALU_DEP_2)
	v_bfi_b32 v34, v30, 0, v6
	v_lshrrev_b64 v[30:31], v19, v[6:7]
	v_cmp_eq_u64_e64 s0, v[34:35], v[32:33]
	s_delay_alu instid0(VALU_DEP_2)
	v_mov_b64_e32 v[32:33], v[30:31]
	s_and_saveexec_b32 s35, s0
; %bb.251:                              ;   in Loop: Header=BB1_163 Depth=2
	v_bfe_u32 v6, v30, 20, 1
	s_delay_alu instid0(VALU_DEP_1) | instskip(NEXT) | instid1(VALU_DEP_1)
	v_add_nc_u64_e32 v[32:33], v[30:31], v[6:7]
	v_add_nc_u64_e32 v[32:33], -1, v[32:33]
; %bb.252:                              ;   in Loop: Header=BB1_163 Depth=2
	s_or_b32 exec_lo, exec_lo, s35
	v_add_nc_u32_e32 v3, 0xffffff81, v4
	v_lshrrev_b32_e32 v4, 23, v30
	s_mov_b32 s0, exec_lo
	s_delay_alu instid0(VALU_DEP_2) | instskip(NEXT) | instid1(VALU_DEP_1)
	v_cndmask_b32_e64 v3, v3, 0xffffff82, vcc_lo
	v_add3_u32 v4, v19, v3, v4
	v_and_b32_e32 v3, 0xfffff, v32
	s_delay_alu instid0(VALU_DEP_1) | instskip(NEXT) | instid1(VALU_DEP_1)
	v_dual_add_nc_u32 v19, 7, v4 :: v_dual_add_nc_u32 v6, v3, v30
                                        ; implicit-def: $vgpr30_vgpr31
                                        ; implicit-def: $vgpr3
	v_cmpx_ne_u32_e32 0, v19
	s_xor_b32 s0, exec_lo, s0
; %bb.253:                              ;   in Loop: Header=BB1_163 Depth=2
	s_delay_alu instid0(VALU_DEP_2) | instskip(SKIP_2) | instid1(VALU_DEP_2)
	v_cmp_lt_u64_e32 vcc_lo, 0xffffff, v[6:7]
	v_add_nc_u32_e32 v3, 8, v4
	v_cndmask_b32_e64 v4, 0, 1, vcc_lo
	v_cndmask_b32_e32 v3, v19, v3, vcc_lo
	s_delay_alu instid0(VALU_DEP_2)
	v_lshrrev_b64 v[30:31], v4, v[6:7]
; %bb.254:                              ;   in Loop: Header=BB1_163 Depth=2
	s_and_not1_saveexec_b32 s0, s0
; %bb.255:                              ;   in Loop: Header=BB1_163 Depth=2
	v_mov_b64_e32 v[30:31], v[6:7]
	v_bfe_u32 v3, v6, 23, 1
; %bb.256:                              ;   in Loop: Header=BB1_163 Depth=2
	s_or_b32 exec_lo, exec_lo, s0
	s_delay_alu instid0(VALU_DEP_2) | instskip(NEXT) | instid1(VALU_DEP_2)
	v_lshrrev_b64 v[30:31], 20, v[30:31]
	v_cmp_gt_i32_e32 vcc_lo, 16, v3
	v_and_b32_e32 v1, 0x80, v1
	v_min_i32_e32 v4, 15, v3
	v_cmp_eq_u32_e64 s0, 0, v3
	v_dual_cndmask_b32 v31, 0, v31 :: v_dual_cndmask_b32 v30, 7, v30
	s_delay_alu instid0(VALU_DEP_3) | instskip(NEXT) | instid1(VALU_DEP_2)
	v_lshl_or_b32 v1, v4, 3, v1
	v_cmp_eq_u64_e32 vcc_lo, 0, v[30:31]
	s_delay_alu instid0(VALU_DEP_2)
	v_and_or_b32 v1, v30, 7, v1
	s_and_b32 s0, s0, vcc_lo
	s_delay_alu instid0(VALU_DEP_1) | instid1(SALU_CYCLE_1)
	v_cndmask_b32_e64 v30, v1, 0, s0
.LBB1_257:                              ;   in Loop: Header=BB1_163 Depth=2
	s_or_b32 exec_lo, exec_lo, s34
                                        ; implicit-def: $vgpr1
.LBB1_258:                              ;   in Loop: Header=BB1_163 Depth=2
	s_and_not1_saveexec_b32 s0, s29
; %bb.259:                              ;   in Loop: Header=BB1_163 Depth=2
	v_or_b32_e32 v30, 0x7f, v1
; %bb.260:                              ;   in Loop: Header=BB1_163 Depth=2
	s_or_b32 exec_lo, exec_lo, s0
.LBB1_261:                              ;   in Loop: Header=BB1_163 Depth=2
	s_delay_alu instid0(SALU_CYCLE_1) | instskip(SKIP_2) | instid1(VALU_DEP_1)
	s_or_b32 exec_lo, exec_lo, s28
	v_and_b32_e32 v1, 0xffff0000, v5
	s_mov_b32 s28, exec_lo
	v_div_scale_f32 v3, null, s10, s10, v1
	s_delay_alu instid0(VALU_DEP_1) | instskip(SKIP_1) | instid1(TRANS32_DEP_1)
	v_rcp_f32_e32 v4, v3
	v_nop
	v_fma_f32 v5, -v3, v4, 1.0
	s_delay_alu instid0(VALU_DEP_1) | instskip(SKIP_1) | instid1(VALU_DEP_1)
	v_fmac_f32_e32 v4, v5, v4
	v_div_scale_f32 v5, vcc_lo, v1, s10, v1
	v_mul_f32_e32 v6, v5, v4
	s_delay_alu instid0(VALU_DEP_1) | instskip(NEXT) | instid1(VALU_DEP_1)
	v_fma_f32 v19, -v3, v6, v5
	v_fmac_f32_e32 v6, v19, v4
	s_delay_alu instid0(VALU_DEP_1) | instskip(NEXT) | instid1(VALU_DEP_1)
	v_fma_f32 v3, -v3, v6, v5
	v_div_fmas_f32 v3, v3, v4, v6
	s_delay_alu instid0(VALU_DEP_1) | instskip(NEXT) | instid1(VALU_DEP_1)
	v_div_fixup_f32 v3, v3, s10, v1
	v_and_b32_e32 v6, 0x7f800000, v3
	s_delay_alu instid0(VALU_DEP_1)
	v_cmpx_ne_u64_e32 0x7f800000, v[6:7]
	s_cbranch_execz .LBB1_162
; %bb.262:                              ;   in Loop: Header=BB1_163 Depth=2
	v_and_b32_e32 v6, 0x7fffffff, v3
	v_lshrrev_b32_e32 v1, 24, v3
                                        ; implicit-def: $vgpr28_vgpr29
	s_mov_b32 s0, exec_lo
	s_delay_alu instid0(VALU_DEP_2)
	v_cmpx_gt_u64_e32 0x43700001, v[6:7]
	s_xor_b32 s29, exec_lo, s0
	s_cbranch_execz .LBB1_272
; %bb.263:                              ;   in Loop: Header=BB1_163 Depth=2
	v_mov_b64_e32 v[28:29], 0
	s_mov_b32 s34, exec_lo
	v_cmpx_ne_u32_e32 0, v3
	s_cbranch_execz .LBB1_271
; %bb.264:                              ;   in Loop: Header=BB1_163 Depth=2
	v_bfe_u32 v19, v3, 23, 8
	v_and_b32_e32 v3, 0x7fffff, v3
	s_delay_alu instid0(VALU_DEP_2) | instskip(SKIP_1) | instid1(VALU_DEP_3)
	v_sub_nc_u32_e32 v4, 0x78, v19
	v_cmp_gt_u32_e32 vcc_lo, 0x79, v19
	v_or_b32_e32 v6, 0x800000, v3
	s_delay_alu instid0(VALU_DEP_3) | instskip(SKIP_1) | instid1(VALU_DEP_2)
	v_cndmask_b32_e32 v4, 0, v4, vcc_lo
	v_cmp_eq_u32_e32 vcc_lo, 0, v19
	v_cndmask_b32_e64 v21, v4, 0x77, vcc_lo
	s_delay_alu instid0(VALU_DEP_1) | instskip(SKIP_1) | instid1(VALU_DEP_2)
	v_dual_cndmask_b32 v6, v6, v3, vcc_lo :: v_dual_add_nc_u32 v4, 20, v21
	v_add_nc_u32_e32 v23, 19, v21
	v_lshlrev_b64_e64 v[4:5], v4, -1
	s_delay_alu instid0(VALU_DEP_2) | instskip(NEXT) | instid1(VALU_DEP_2)
	v_lshlrev_b64_e64 v[28:29], v23, 1
	v_bfi_b32 v33, v5, 0, 0
	s_delay_alu instid0(VALU_DEP_3) | instskip(SKIP_1) | instid1(VALU_DEP_2)
	v_bfi_b32 v32, v4, 0, v6
	v_lshrrev_b64 v[4:5], v21, v[6:7]
	v_cmp_eq_u64_e64 s0, v[32:33], v[28:29]
	s_delay_alu instid0(VALU_DEP_2)
	v_mov_b64_e32 v[28:29], v[4:5]
	s_and_saveexec_b32 s35, s0
; %bb.265:                              ;   in Loop: Header=BB1_163 Depth=2
	v_bfe_u32 v6, v4, 20, 1
	s_delay_alu instid0(VALU_DEP_1) | instskip(NEXT) | instid1(VALU_DEP_1)
	v_add_nc_u64_e32 v[28:29], v[4:5], v[6:7]
	v_add_nc_u64_e32 v[28:29], -1, v[28:29]
; %bb.266:                              ;   in Loop: Header=BB1_163 Depth=2
	s_or_b32 exec_lo, exec_lo, s35
	v_add_nc_u32_e32 v3, 0xffffff81, v19
	v_lshrrev_b32_e32 v5, 23, v4
	s_mov_b32 s0, exec_lo
	s_delay_alu instid0(VALU_DEP_2) | instskip(NEXT) | instid1(VALU_DEP_1)
	v_cndmask_b32_e64 v3, v3, 0xffffff82, vcc_lo
	v_add3_u32 v19, v21, v3, v5
	v_and_b32_e32 v3, 0xfffff, v28
	s_delay_alu instid0(VALU_DEP_1) | instskip(NEXT) | instid1(VALU_DEP_1)
	v_dual_add_nc_u32 v21, 7, v19 :: v_dual_add_nc_u32 v6, v3, v4
                                        ; implicit-def: $vgpr4_vgpr5
                                        ; implicit-def: $vgpr3
	v_cmpx_ne_u32_e32 0, v21
	s_xor_b32 s0, exec_lo, s0
; %bb.267:                              ;   in Loop: Header=BB1_163 Depth=2
	s_delay_alu instid0(VALU_DEP_2) | instskip(SKIP_2) | instid1(VALU_DEP_2)
	v_cmp_lt_u64_e32 vcc_lo, 0xffffff, v[6:7]
	v_add_nc_u32_e32 v3, 8, v19
	v_cndmask_b32_e64 v4, 0, 1, vcc_lo
	v_cndmask_b32_e32 v3, v21, v3, vcc_lo
	s_delay_alu instid0(VALU_DEP_2)
	v_lshrrev_b64 v[4:5], v4, v[6:7]
; %bb.268:                              ;   in Loop: Header=BB1_163 Depth=2
	s_and_not1_saveexec_b32 s0, s0
; %bb.269:                              ;   in Loop: Header=BB1_163 Depth=2
	v_mov_b64_e32 v[4:5], v[6:7]
	v_bfe_u32 v3, v6, 23, 1
; %bb.270:                              ;   in Loop: Header=BB1_163 Depth=2
	s_or_b32 exec_lo, exec_lo, s0
	s_delay_alu instid0(VALU_DEP_2) | instskip(NEXT) | instid1(VALU_DEP_2)
	v_lshrrev_b64 v[4:5], 20, v[4:5]
	v_cmp_gt_i32_e32 vcc_lo, 16, v3
	v_and_b32_e32 v1, 0x80, v1
	v_min_i32_e32 v6, 15, v3
	v_cmp_eq_u32_e64 s0, 0, v3
	v_dual_cndmask_b32 v5, 0, v5 :: v_dual_cndmask_b32 v4, 7, v4
	s_delay_alu instid0(VALU_DEP_3) | instskip(NEXT) | instid1(VALU_DEP_2)
	v_lshl_or_b32 v1, v6, 3, v1
	v_cmp_eq_u64_e32 vcc_lo, 0, v[4:5]
	s_delay_alu instid0(VALU_DEP_2)
	v_and_or_b32 v1, v4, 7, v1
	s_and_b32 s0, s0, vcc_lo
	s_delay_alu instid0(VALU_DEP_1) | instid1(SALU_CYCLE_1)
	v_cndmask_b32_e64 v28, v1, 0, s0
.LBB1_271:                              ;   in Loop: Header=BB1_163 Depth=2
	s_or_b32 exec_lo, exec_lo, s34
                                        ; implicit-def: $vgpr1
.LBB1_272:                              ;   in Loop: Header=BB1_163 Depth=2
	s_and_not1_saveexec_b32 s0, s29
	s_cbranch_execz .LBB1_161
; %bb.273:                              ;   in Loop: Header=BB1_163 Depth=2
	v_or_b32_e32 v28, 0x7f, v1
	s_branch .LBB1_161
.LBB1_274:                              ;   in Loop: Header=BB1_7 Depth=1
	s_or_b32 exec_lo, exec_lo, s22
	s_delay_alu instid0(SALU_CYCLE_1)
	s_and_not1_b32 vcc_lo, exec_lo, s27
	s_cbranch_vccnz .LBB1_6
; %bb.275:                              ;   in Loop: Header=BB1_7 Depth=1
	v_mul_lo_u32 v2, v10, s8
	v_add_nc_u64_e32 v[4:5], s[18:19], v[12:13]
	s_mov_b32 s22, 0
	s_mov_b32 s28, s9
	s_delay_alu instid0(VALU_DEP_2) | instskip(NEXT) | instid1(VALU_DEP_1)
	v_ashrrev_i32_e32 v3, 31, v2
	v_add_nc_u64_e32 v[2:3], v[4:5], v[2:3]
	v_lshl_add_u64 v[4:5], v[8:9], 1, s[14:15]
	s_delay_alu instid0(VALU_DEP_1) | instskip(NEXT) | instid1(VALU_DEP_3)
	v_lshl_add_u64 v[4:5], v[10:11], 1, v[4:5]
	v_add_nc_u64_e32 v[2:3], s[4:5], v[2:3]
	s_branch .LBB1_278
.LBB1_276:                              ;   in Loop: Header=BB1_278 Depth=2
	s_or_b32 exec_lo, exec_lo, s0
.LBB1_277:                              ;   in Loop: Header=BB1_278 Depth=2
	s_delay_alu instid0(SALU_CYCLE_1)
	s_or_b32 exec_lo, exec_lo, s23
	s_ashr_i32 s23, s22, 31
	v_add_nc_u64_e32 v[4:5], 2, v[4:5]
	v_add_nc_u64_e32 v[8:9], s[22:23], v[2:3]
	s_add_co_i32 s28, s28, -1
	s_add_co_i32 s22, s22, s8
	s_cmp_eq_u32 s28, 0
	global_store_b8 v[8:9], v6, off
	s_cbranch_scc1 .LBB1_6
.LBB1_278:                              ;   Parent Loop BB1_7 Depth=1
                                        ; =>  This Inner Loop Header: Depth=2
	global_load_u16 v1, v[4:5], off
	s_wait_loadcnt 0x0
	v_lshlrev_b32_e32 v1, 16, v1
	s_wait_xcnt 0x1
	s_delay_alu instid0(VALU_DEP_1) | instskip(NEXT) | instid1(VALU_DEP_1)
	v_div_scale_f32 v6, null, s11, s11, v1
	v_rcp_f32_e32 v8, v6
	v_nop
	s_delay_alu instid0(TRANS32_DEP_1) | instskip(NEXT) | instid1(VALU_DEP_1)
	v_fma_f32 v9, -v6, v8, 1.0
	v_fmac_f32_e32 v8, v9, v8
	v_div_scale_f32 v9, vcc_lo, v1, s11, v1
	s_delay_alu instid0(VALU_DEP_1) | instskip(NEXT) | instid1(VALU_DEP_1)
	v_mul_f32_e32 v10, v9, v8
	v_fma_f32 v11, -v6, v10, v9
	s_delay_alu instid0(VALU_DEP_1) | instskip(NEXT) | instid1(VALU_DEP_1)
	v_fmac_f32_e32 v10, v11, v8
	v_fma_f32 v6, -v6, v10, v9
	s_delay_alu instid0(VALU_DEP_1) | instskip(NEXT) | instid1(VALU_DEP_1)
	v_div_fmas_f32 v6, v6, v8, v10
	v_div_fixup_f32 v1, v6, s11, v1
	s_delay_alu instid0(VALU_DEP_1) | instskip(NEXT) | instid1(VALU_DEP_1)
	v_and_b32_e32 v6, 0x7f800000, v1
	v_cmp_ne_u64_e32 vcc_lo, 0x7f800000, v[6:7]
	v_mov_b32_e32 v6, 0x80
	s_wait_xcnt 0x0
	s_and_saveexec_b32 s23, vcc_lo
	s_cbranch_execz .LBB1_277
; %bb.279:                              ;   in Loop: Header=BB1_278 Depth=2
	v_and_b32_e32 v6, 0x7fffffff, v1
	s_delay_alu instid0(VALU_DEP_1) | instskip(SKIP_1) | instid1(SALU_CYCLE_1)
	v_cmp_gt_u64_e32 vcc_lo, 0x43700001, v[6:7]
                                        ; implicit-def: $vgpr6
	s_and_saveexec_b32 s0, vcc_lo
	s_xor_b32 s29, exec_lo, s0
	s_cbranch_execz .LBB1_289
; %bb.280:                              ;   in Loop: Header=BB1_278 Depth=2
	v_mov_b32_e32 v6, 0
	s_mov_b32 s34, exec_lo
	v_cmpx_ne_u32_e32 0, v1
	s_cbranch_execz .LBB1_288
; %bb.281:                              ;   in Loop: Header=BB1_278 Depth=2
	v_bfe_u32 v12, v1, 23, 8
	s_delay_alu instid0(VALU_DEP_1) | instskip(SKIP_1) | instid1(VALU_DEP_2)
	v_sub_nc_u32_e32 v6, 0x78, v12
	v_cmp_gt_u32_e32 vcc_lo, 0x79, v12
	v_cndmask_b32_e32 v6, 0, v6, vcc_lo
	v_cmp_eq_u32_e32 vcc_lo, 0, v12
	s_delay_alu instid0(VALU_DEP_2) | instskip(SKIP_1) | instid1(VALU_DEP_2)
	v_cndmask_b32_e64 v13, v6, 0x77, vcc_lo
	v_and_b32_e32 v6, 0x7fffff, v1
	v_add_nc_u32_e32 v8, 20, v13
	s_delay_alu instid0(VALU_DEP_2) | instskip(SKIP_1) | instid1(VALU_DEP_3)
	v_or_b32_e32 v10, 0x800000, v6
	v_add_nc_u32_e32 v11, 19, v13
	v_lshlrev_b64_e64 v[8:9], v8, -1
	s_delay_alu instid0(VALU_DEP_3) | instskip(NEXT) | instid1(VALU_DEP_3)
	v_cndmask_b32_e32 v6, v10, v6, vcc_lo
	v_lshlrev_b64_e64 v[10:11], v11, 1
	s_delay_alu instid0(VALU_DEP_3) | instskip(NEXT) | instid1(VALU_DEP_3)
	v_bfi_b32 v15, v9, 0, 0
	v_bfi_b32 v14, v8, 0, v6
	v_lshrrev_b64 v[8:9], v13, v[6:7]
	s_delay_alu instid0(VALU_DEP_2) | instskip(NEXT) | instid1(VALU_DEP_2)
	v_cmp_eq_u64_e64 s0, v[14:15], v[10:11]
	v_mov_b64_e32 v[10:11], v[8:9]
	s_and_saveexec_b32 s35, s0
; %bb.282:                              ;   in Loop: Header=BB1_278 Depth=2
	v_bfe_u32 v6, v8, 20, 1
	s_delay_alu instid0(VALU_DEP_1) | instskip(NEXT) | instid1(VALU_DEP_1)
	v_add_nc_u64_e32 v[10:11], v[8:9], v[6:7]
	v_add_nc_u64_e32 v[10:11], -1, v[10:11]
; %bb.283:                              ;   in Loop: Header=BB1_278 Depth=2
	s_or_b32 exec_lo, exec_lo, s35
	v_add_nc_u32_e32 v6, 0xffffff81, v12
	v_lshrrev_b32_e32 v9, 23, v8
	s_mov_b32 s0, exec_lo
	s_delay_alu instid0(VALU_DEP_2) | instskip(NEXT) | instid1(VALU_DEP_1)
	v_cndmask_b32_e64 v6, v6, 0xffffff82, vcc_lo
	v_add3_u32 v11, v13, v6, v9
	v_and_b32_e32 v6, 0xfffff, v10
                                        ; implicit-def: $vgpr10
	s_delay_alu instid0(VALU_DEP_1) | instskip(NEXT) | instid1(VALU_DEP_1)
	v_dual_add_nc_u32 v12, 7, v11 :: v_dual_add_nc_u32 v6, v6, v8
                                        ; implicit-def: $vgpr8_vgpr9
	v_cmpx_ne_u32_e32 0, v12
	s_xor_b32 s0, exec_lo, s0
; %bb.284:                              ;   in Loop: Header=BB1_278 Depth=2
	s_delay_alu instid0(VALU_DEP_2) | instskip(SKIP_1) | instid1(VALU_DEP_1)
	v_cmp_lt_u64_e32 vcc_lo, 0xffffff, v[6:7]
	v_add_nc_u32_e32 v8, 8, v11
	v_cndmask_b32_e32 v10, v12, v8, vcc_lo
	v_cndmask_b32_e64 v8, 0, 1, vcc_lo
	s_delay_alu instid0(VALU_DEP_1)
	v_lshrrev_b64 v[8:9], v8, v[6:7]
; %bb.285:                              ;   in Loop: Header=BB1_278 Depth=2
	s_and_not1_saveexec_b32 s0, s0
; %bb.286:                              ;   in Loop: Header=BB1_278 Depth=2
	v_mov_b64_e32 v[8:9], v[6:7]
	v_bfe_u32 v10, v6, 23, 1
; %bb.287:                              ;   in Loop: Header=BB1_278 Depth=2
	s_or_b32 exec_lo, exec_lo, s0
	s_delay_alu instid0(VALU_DEP_2) | instskip(NEXT) | instid1(VALU_DEP_2)
	v_lshrrev_b64 v[8:9], 20, v[8:9]
	v_dual_lshrrev_b32 v1, 24, v1 :: v_dual_min_i32 v6, 15, v10
	v_cmp_gt_i32_e32 vcc_lo, 16, v10
	v_cmp_eq_u32_e64 s0, 0, v10
	s_delay_alu instid0(VALU_DEP_3) | instskip(SKIP_1) | instid1(VALU_DEP_2)
	v_and_b32_e32 v1, 0x80, v1
	v_dual_cndmask_b32 v9, 0, v9 :: v_dual_cndmask_b32 v8, 7, v8
	v_lshl_or_b32 v1, v6, 3, v1
	s_delay_alu instid0(VALU_DEP_2) | instskip(NEXT) | instid1(VALU_DEP_2)
	v_cmp_eq_u64_e32 vcc_lo, 0, v[8:9]
	v_and_or_b32 v1, v8, 7, v1
	s_and_b32 s0, s0, vcc_lo
	s_delay_alu instid0(VALU_DEP_1) | instid1(SALU_CYCLE_1)
	v_cndmask_b32_e64 v6, v1, 0, s0
.LBB1_288:                              ;   in Loop: Header=BB1_278 Depth=2
	s_or_b32 exec_lo, exec_lo, s34
                                        ; implicit-def: $vgpr1
.LBB1_289:                              ;   in Loop: Header=BB1_278 Depth=2
	s_and_not1_saveexec_b32 s0, s29
	s_cbranch_execz .LBB1_276
; %bb.290:                              ;   in Loop: Header=BB1_278 Depth=2
	v_lshrrev_b32_e32 v1, 24, v1
	s_delay_alu instid0(VALU_DEP_1)
	v_or_b32_e32 v6, 0x7f, v1
	s_branch .LBB1_276
.LBB1_291:
	s_endpgm
.LBB1_292:
                                        ; implicit-def: $sgpr28_sgpr29
	s_branch .LBB1_3
	.section	.rodata,"a",@progbits
	.p2align	6, 0x0
	.amdhsa_kernel _Z24reshape_and_cache_kernelI14__hip_bfloat16hL18Fp8KVCacheDataType1EEvPKT_S4_PT0_S6_PKliiiiiiff
		.amdhsa_group_segment_fixed_size 0
		.amdhsa_private_segment_fixed_size 0
		.amdhsa_kernarg_size 328
		.amdhsa_user_sgpr_count 2
		.amdhsa_user_sgpr_dispatch_ptr 0
		.amdhsa_user_sgpr_queue_ptr 0
		.amdhsa_user_sgpr_kernarg_segment_ptr 1
		.amdhsa_user_sgpr_dispatch_id 0
		.amdhsa_user_sgpr_kernarg_preload_length 0
		.amdhsa_user_sgpr_kernarg_preload_offset 0
		.amdhsa_user_sgpr_private_segment_size 0
		.amdhsa_wavefront_size32 1
		.amdhsa_uses_dynamic_stack 0
		.amdhsa_enable_private_segment 0
		.amdhsa_system_sgpr_workgroup_id_x 1
		.amdhsa_system_sgpr_workgroup_id_y 0
		.amdhsa_system_sgpr_workgroup_id_z 0
		.amdhsa_system_sgpr_workgroup_info 0
		.amdhsa_system_vgpr_workitem_id 0
		.amdhsa_next_free_vgpr 42
		.amdhsa_next_free_sgpr 45
		.amdhsa_named_barrier_count 0
		.amdhsa_reserve_vcc 1
		.amdhsa_float_round_mode_32 0
		.amdhsa_float_round_mode_16_64 0
		.amdhsa_float_denorm_mode_32 3
		.amdhsa_float_denorm_mode_16_64 3
		.amdhsa_fp16_overflow 0
		.amdhsa_memory_ordered 1
		.amdhsa_forward_progress 1
		.amdhsa_inst_pref_size 111
		.amdhsa_round_robin_scheduling 0
		.amdhsa_exception_fp_ieee_invalid_op 0
		.amdhsa_exception_fp_denorm_src 0
		.amdhsa_exception_fp_ieee_div_zero 0
		.amdhsa_exception_fp_ieee_overflow 0
		.amdhsa_exception_fp_ieee_underflow 0
		.amdhsa_exception_fp_ieee_inexact 0
		.amdhsa_exception_int_div_zero 0
	.end_amdhsa_kernel
	.section	.text._Z24reshape_and_cache_kernelI14__hip_bfloat16hL18Fp8KVCacheDataType1EEvPKT_S4_PT0_S6_PKliiiiiiff,"axG",@progbits,_Z24reshape_and_cache_kernelI14__hip_bfloat16hL18Fp8KVCacheDataType1EEvPKT_S4_PT0_S6_PKliiiiiiff,comdat
.Lfunc_end1:
	.size	_Z24reshape_and_cache_kernelI14__hip_bfloat16hL18Fp8KVCacheDataType1EEvPKT_S4_PT0_S6_PKliiiiiiff, .Lfunc_end1-_Z24reshape_and_cache_kernelI14__hip_bfloat16hL18Fp8KVCacheDataType1EEvPKT_S4_PT0_S6_PKliiiiiiff
                                        ; -- End function
	.set _Z24reshape_and_cache_kernelI14__hip_bfloat16hL18Fp8KVCacheDataType1EEvPKT_S4_PT0_S6_PKliiiiiiff.num_vgpr, 42
	.set _Z24reshape_and_cache_kernelI14__hip_bfloat16hL18Fp8KVCacheDataType1EEvPKT_S4_PT0_S6_PKliiiiiiff.num_agpr, 0
	.set _Z24reshape_and_cache_kernelI14__hip_bfloat16hL18Fp8KVCacheDataType1EEvPKT_S4_PT0_S6_PKliiiiiiff.numbered_sgpr, 45
	.set _Z24reshape_and_cache_kernelI14__hip_bfloat16hL18Fp8KVCacheDataType1EEvPKT_S4_PT0_S6_PKliiiiiiff.num_named_barrier, 0
	.set _Z24reshape_and_cache_kernelI14__hip_bfloat16hL18Fp8KVCacheDataType1EEvPKT_S4_PT0_S6_PKliiiiiiff.private_seg_size, 0
	.set _Z24reshape_and_cache_kernelI14__hip_bfloat16hL18Fp8KVCacheDataType1EEvPKT_S4_PT0_S6_PKliiiiiiff.uses_vcc, 1
	.set _Z24reshape_and_cache_kernelI14__hip_bfloat16hL18Fp8KVCacheDataType1EEvPKT_S4_PT0_S6_PKliiiiiiff.uses_flat_scratch, 0
	.set _Z24reshape_and_cache_kernelI14__hip_bfloat16hL18Fp8KVCacheDataType1EEvPKT_S4_PT0_S6_PKliiiiiiff.has_dyn_sized_stack, 0
	.set _Z24reshape_and_cache_kernelI14__hip_bfloat16hL18Fp8KVCacheDataType1EEvPKT_S4_PT0_S6_PKliiiiiiff.has_recursion, 0
	.set _Z24reshape_and_cache_kernelI14__hip_bfloat16hL18Fp8KVCacheDataType1EEvPKT_S4_PT0_S6_PKliiiiiiff.has_indirect_call, 0
	.section	.AMDGPU.csdata,"",@progbits
; Kernel info:
; codeLenInByte = 14124
; TotalNumSgprs: 47
; NumVgprs: 42
; ScratchSize: 0
; MemoryBound: 0
; FloatMode: 240
; IeeeMode: 1
; LDSByteSize: 0 bytes/workgroup (compile time only)
; SGPRBlocks: 0
; VGPRBlocks: 2
; NumSGPRsForWavesPerEU: 47
; NumVGPRsForWavesPerEU: 42
; NamedBarCnt: 0
; Occupancy: 16
; WaveLimiterHint : 0
; COMPUTE_PGM_RSRC2:SCRATCH_EN: 0
; COMPUTE_PGM_RSRC2:USER_SGPR: 2
; COMPUTE_PGM_RSRC2:TRAP_HANDLER: 0
; COMPUTE_PGM_RSRC2:TGID_X_EN: 1
; COMPUTE_PGM_RSRC2:TGID_Y_EN: 0
; COMPUTE_PGM_RSRC2:TGID_Z_EN: 0
; COMPUTE_PGM_RSRC2:TIDIG_COMP_CNT: 0
	.section	.AMDGPU.gpr_maximums,"",@progbits
	.set amdgpu.max_num_vgpr, 0
	.set amdgpu.max_num_agpr, 0
	.set amdgpu.max_num_sgpr, 0
	.section	.AMDGPU.csdata,"",@progbits
	.type	__hip_cuid_b43349a5341aa302,@object ; @__hip_cuid_b43349a5341aa302
	.section	.bss,"aw",@nobits
	.globl	__hip_cuid_b43349a5341aa302
__hip_cuid_b43349a5341aa302:
	.byte	0                               ; 0x0
	.size	__hip_cuid_b43349a5341aa302, 1

	.ident	"AMD clang version 22.0.0git (https://github.com/RadeonOpenCompute/llvm-project roc-7.2.4 26084 f58b06dce1f9c15707c5f808fd002e18c2accf7e)"
	.section	".note.GNU-stack","",@progbits
	.addrsig
	.addrsig_sym __hip_cuid_b43349a5341aa302
	.amdgpu_metadata
---
amdhsa.kernels:
  - .args:
      - .address_space:  global
        .offset:         0
        .size:           8
        .value_kind:     global_buffer
      - .actual_access:  read_only
        .address_space:  global
        .offset:         8
        .size:           8
        .value_kind:     global_buffer
      - .actual_access:  write_only
        .address_space:  global
        .offset:         16
        .size:           8
        .value_kind:     global_buffer
      - .actual_access:  write_only
        .address_space:  global
        .offset:         24
        .size:           8
        .value_kind:     global_buffer
      - .actual_access:  read_only
        .address_space:  global
        .offset:         32
        .size:           8
        .value_kind:     global_buffer
      - .offset:         40
        .size:           4
        .value_kind:     by_value
      - .offset:         44
        .size:           4
        .value_kind:     by_value
      - .offset:         48
        .size:           4
        .value_kind:     by_value
      - .offset:         52
        .size:           4
        .value_kind:     by_value
      - .offset:         56
        .size:           4
        .value_kind:     by_value
      - .offset:         60
        .size:           4
        .value_kind:     by_value
      - .offset:         64
        .size:           4
        .value_kind:     by_value
      - .offset:         68
        .size:           4
        .value_kind:     by_value
      - .offset:         72
        .size:           4
        .value_kind:     hidden_block_count_x
      - .offset:         76
        .size:           4
        .value_kind:     hidden_block_count_y
      - .offset:         80
        .size:           4
        .value_kind:     hidden_block_count_z
      - .offset:         84
        .size:           2
        .value_kind:     hidden_group_size_x
      - .offset:         86
        .size:           2
        .value_kind:     hidden_group_size_y
      - .offset:         88
        .size:           2
        .value_kind:     hidden_group_size_z
      - .offset:         90
        .size:           2
        .value_kind:     hidden_remainder_x
      - .offset:         92
        .size:           2
        .value_kind:     hidden_remainder_y
      - .offset:         94
        .size:           2
        .value_kind:     hidden_remainder_z
      - .offset:         112
        .size:           8
        .value_kind:     hidden_global_offset_x
      - .offset:         120
        .size:           8
        .value_kind:     hidden_global_offset_y
      - .offset:         128
        .size:           8
        .value_kind:     hidden_global_offset_z
      - .offset:         136
        .size:           2
        .value_kind:     hidden_grid_dims
    .group_segment_fixed_size: 0
    .kernarg_segment_align: 8
    .kernarg_segment_size: 328
    .language:       OpenCL C
    .language_version:
      - 2
      - 0
    .max_flat_workgroup_size: 1024
    .name:           _Z24reshape_and_cache_kernelIfhL18Fp8KVCacheDataType1EEvPKT_S3_PT0_S5_PKliiiiiiff
    .private_segment_fixed_size: 0
    .sgpr_count:     47
    .sgpr_spill_count: 0
    .symbol:         _Z24reshape_and_cache_kernelIfhL18Fp8KVCacheDataType1EEvPKT_S3_PT0_S5_PKliiiiiiff.kd
    .uniform_work_group_size: 1
    .uses_dynamic_stack: false
    .vgpr_count:     34
    .vgpr_spill_count: 0
    .wavefront_size: 32
  - .args:
      - .address_space:  global
        .offset:         0
        .size:           8
        .value_kind:     global_buffer
      - .actual_access:  read_only
        .address_space:  global
        .offset:         8
        .size:           8
        .value_kind:     global_buffer
      - .actual_access:  write_only
        .address_space:  global
        .offset:         16
        .size:           8
        .value_kind:     global_buffer
      - .actual_access:  write_only
        .address_space:  global
        .offset:         24
        .size:           8
        .value_kind:     global_buffer
      - .actual_access:  read_only
        .address_space:  global
        .offset:         32
        .size:           8
        .value_kind:     global_buffer
      - .offset:         40
        .size:           4
        .value_kind:     by_value
      - .offset:         44
        .size:           4
        .value_kind:     by_value
      - .offset:         48
        .size:           4
        .value_kind:     by_value
      - .offset:         52
        .size:           4
        .value_kind:     by_value
      - .offset:         56
        .size:           4
        .value_kind:     by_value
      - .offset:         60
        .size:           4
        .value_kind:     by_value
      - .offset:         64
        .size:           4
        .value_kind:     by_value
      - .offset:         68
        .size:           4
        .value_kind:     by_value
      - .offset:         72
        .size:           4
        .value_kind:     hidden_block_count_x
      - .offset:         76
        .size:           4
        .value_kind:     hidden_block_count_y
      - .offset:         80
        .size:           4
        .value_kind:     hidden_block_count_z
      - .offset:         84
        .size:           2
        .value_kind:     hidden_group_size_x
      - .offset:         86
        .size:           2
        .value_kind:     hidden_group_size_y
      - .offset:         88
        .size:           2
        .value_kind:     hidden_group_size_z
      - .offset:         90
        .size:           2
        .value_kind:     hidden_remainder_x
      - .offset:         92
        .size:           2
        .value_kind:     hidden_remainder_y
      - .offset:         94
        .size:           2
        .value_kind:     hidden_remainder_z
      - .offset:         112
        .size:           8
        .value_kind:     hidden_global_offset_x
      - .offset:         120
        .size:           8
        .value_kind:     hidden_global_offset_y
      - .offset:         128
        .size:           8
        .value_kind:     hidden_global_offset_z
      - .offset:         136
        .size:           2
        .value_kind:     hidden_grid_dims
    .group_segment_fixed_size: 0
    .kernarg_segment_align: 8
    .kernarg_segment_size: 328
    .language:       OpenCL C
    .language_version:
      - 2
      - 0
    .max_flat_workgroup_size: 1024
    .name:           _Z24reshape_and_cache_kernelI14__hip_bfloat16hL18Fp8KVCacheDataType1EEvPKT_S4_PT0_S6_PKliiiiiiff
    .private_segment_fixed_size: 0
    .sgpr_count:     47
    .sgpr_spill_count: 0
    .symbol:         _Z24reshape_and_cache_kernelI14__hip_bfloat16hL18Fp8KVCacheDataType1EEvPKT_S4_PT0_S6_PKliiiiiiff.kd
    .uniform_work_group_size: 1
    .uses_dynamic_stack: false
    .vgpr_count:     42
    .vgpr_spill_count: 0
    .wavefront_size: 32
amdhsa.target:   amdgcn-amd-amdhsa--gfx1250
amdhsa.version:
  - 1
  - 2
...

	.end_amdgpu_metadata
